;; amdgpu-corpus repo=triton-lang/triton kind=triton arch=gfx1100 opt=O3 lang=triton
	.amdgcn_target "amdgcn-amd-amdhsa--gfx1100"
	.amdhsa_code_object_version 5
	.text
	.globl	_layer_norm_bwd_dwdb            ; -- Begin function _layer_norm_bwd_dwdb
	.p2align	8
	.type	_layer_norm_bwd_dwdb,@function
_layer_norm_bwd_dwdb:                   ; @_layer_norm_bwd_dwdb
.Lfunc_begin0:
	.file	1 "/root/src/amdgpu-assembly/repos/triton-lang__triton-aot" "layer_norm_bwd.py"
	.loc	1 73 0                          ; layer_norm_bwd.py:73:0
	.cfi_sections .debug_frame
	.cfi_startproc
; %bb.0:
	s_clause 0x1
	s_load_b64 s[2:3], s[0:1], 0x20
	s_load_b128 s[4:7], s[0:1], 0x10
.Ltmp0:
	.loc	1 82 45 prologue_end            ; layer_norm_bwd.py:82:45
	v_and_b32_e32 v178, 0x7f, v0
	.loc	1 82 17 is_stmt 0               ; layer_norm_bwd.py:82:17
	s_lshl_b32 s12, s15, 7
	s_delay_alu instid0(VALU_DEP_1) | instid1(SALU_CYCLE_1)
	.loc	1 82 32                         ; layer_norm_bwd.py:82:32
	v_or_b32_e32 v1, s12, v178
	.loc	1 86 25 is_stmt 1               ; layer_norm_bwd.py:86:25
	s_waitcnt lgkmcnt(0)
	s_cmp_lt_i32 s2, 1
	s_delay_alu instid0(VALU_DEP_1)
	.loc	1 88 54                         ; layer_norm_bwd.py:88:54
	v_cmp_gt_i32_e32 vcc_lo, s3, v1
	.loc	1 86 25                         ; layer_norm_bwd.py:86:25
	s_cbranch_scc1 .LBB0_260
; %bb.1:                                ; %.lr.ph.preheader
	.loc	1 82 45                         ; layer_norm_bwd.py:82:45
	v_lshrrev_b32_e32 v51, 7, v0
	s_load_b128 s[8:11], s[0:1], 0x0
	v_mov_b32_e32 v250, 0
	v_mov_b32_e32 v248, 0
	;; [unrolled: 1-line block ×3, first 2 shown]
	.loc	1 90 22                         ; layer_norm_bwd.py:90:22
	v_or_b32_e32 v50, 2, v51
	v_or_b32_e32 v5, 0x7a, v51
	;; [unrolled: 1-line block ×5, first 2 shown]
	v_mad_u64_u32 v[234:235], null, s3, v50, s[12:13]
	v_mov_b32_e32 v50, 0
	v_or_b32_e32 v23, 0x4a, v51
	v_or_b32_e32 v11, 0x6a, v51
	;; [unrolled: 1-line block ×4, first 2 shown]
	scratch_store_b32 off, v50, off offset:432 ; 4-byte Folded Spill
	v_mov_b32_e32 v50, 0
	scratch_store_b32 off, v0, off offset:508 ; 4-byte Folded Spill
	v_or_b32_e32 v0, 0x7c, v51
	v_mad_u64_u32 v[24:25], null, s3, v23, s[12:13]
	v_or_b32_e32 v17, 0x5a, v51
	v_or_b32_e32 v19, 0x54, v51
	s_delay_alu instid0(VALU_DEP_4) | instskip(SKIP_4) | instid1(VALU_DEP_4)
	v_mad_u64_u32 v[2:3], null, s3, v0, s[12:13]
	v_or_b32_e32 v0, 0x72, v51
	v_mad_u64_u32 v[3:4], null, s3, v5, s[12:13]
	v_mad_u64_u32 v[4:5], null, s3, v6, s[12:13]
	v_mad_u64_u32 v[5:6], null, s3, v7, s[12:13]
	v_mad_u64_u32 v[6:7], null, s3, v0, s[12:13]
	v_mad_u64_u32 v[7:8], null, s3, v9, s[12:13]
	v_or_b32_e32 v0, 0x6c, v51
	v_or_b32_e32 v21, 0x50, v51
	scratch_store_b32 off, v50, off offset:424 ; 4-byte Folded Spill
	v_mov_b32_e32 v50, 0
	scratch_store_b64 off, v[24:25], off offset:8 ; 8-byte Folded Spill
	v_or_b32_e32 v25, 0x44, v51
	scratch_store_b64 off, v[7:8], off      ; 8-byte Folded Spill
	v_mad_u64_u32 v[7:8], null, s3, v0, s[12:13]
	v_or_b32_e32 v0, 0x68, v51
	v_mad_u64_u32 v[8:9], null, s3, v11, s[12:13]
	v_or_b32_e32 v27, 64, v51
	v_or_b32_e32 v29, 58, v51
	s_delay_alu instid0(VALU_DEP_4) | instskip(SKIP_4) | instid1(VALU_DEP_4)
	v_mad_u64_u32 v[9:10], null, s3, v0, s[12:13]
	v_or_b32_e32 v0, 0x62, v51
	v_mad_u64_u32 v[10:11], null, s3, v13, s[12:13]
	v_or_b32_e32 v31, 52, v51
	v_or_b32_e32 v33, 48, v51
	v_mad_u64_u32 v[11:12], null, s3, v0, s[12:13]
	v_or_b32_e32 v0, 0x5c, v51
	v_mad_u64_u32 v[12:13], null, s3, v15, s[12:13]
	v_or_b32_e32 v35, 42, v51
	v_or_b32_e32 v37, 36, v51
	s_delay_alu instid0(VALU_DEP_4) | instskip(SKIP_3) | instid1(VALU_DEP_3)
	v_mad_u64_u32 v[14:15], null, s3, v0, s[12:13]
	v_or_b32_e32 v0, 0x58, v51
	v_mad_u64_u32 v[15:16], null, s3, v17, s[12:13]
	v_mad_u64_u32 v[55:56], null, s3, v35, s[12:13]
	v_mad_u64_u32 v[16:17], null, s3, v0, s[12:13]
	v_or_b32_e32 v0, 0x52, v51
	v_mad_u64_u32 v[17:18], null, s3, v19, s[12:13]
	v_or_b32_e32 v39, 32, v51
	v_or_b32_e32 v41, 26, v51
	s_delay_alu instid0(VALU_DEP_4) | instskip(SKIP_4) | instid1(VALU_DEP_4)
	v_mad_u64_u32 v[18:19], null, s3, v0, s[12:13]
	v_or_b32_e32 v0, 0x4c, v51
	v_mad_u64_u32 v[19:20], null, s3, v21, s[12:13]
	v_or_b32_e32 v43, 20, v51
	v_or_b32_e32 v45, 16, v51
	v_mad_u64_u32 v[20:21], null, s3, v0, s[12:13]
	v_or_b32_e32 v0, 0x48, v51
	v_or_b32_e32 v47, 10, v51
	;; [unrolled: 1-line block ×3, first 2 shown]
	v_mov_b32_e32 v244, 0
	v_mov_b32_e32 v242, 0
	v_mad_u64_u32 v[21:22], null, s3, v0, s[12:13]
	v_or_b32_e32 v0, 0x42, v51
	v_mad_u64_u32 v[22:23], null, s3, v25, s[12:13]
	v_mov_b32_e32 v240, 0
	v_mov_b32_e32 v230, 0
	s_delay_alu instid0(VALU_DEP_4) | instskip(SKIP_3) | instid1(VALU_DEP_3)
	v_mad_u64_u32 v[23:24], null, s3, v0, s[12:13]
	v_or_b32_e32 v0, 60, v51
	v_mad_u64_u32 v[24:25], null, s3, v27, s[12:13]
	v_mad_u64_u32 v[25:26], null, s3, v29, s[12:13]
	;; [unrolled: 1-line block ×3, first 2 shown]
	v_or_b32_e32 v0, 56, v51
	v_mov_b32_e32 v228, 0
	v_mov_b32_e32 v226, 0
	;; [unrolled: 1-line block ×4, first 2 shown]
	v_mad_u64_u32 v[28:29], null, s3, v0, s[12:13]
	v_or_b32_e32 v0, 50, v51
	v_mad_u64_u32 v[29:30], null, s3, v31, s[12:13]
	v_mov_b32_e32 v220, 0
	v_mov_b32_e32 v218, 0
	s_delay_alu instid0(VALU_DEP_4) | instskip(SKIP_4) | instid1(VALU_DEP_4)
	v_mad_u64_u32 v[30:31], null, s3, v0, s[12:13]
	v_or_b32_e32 v0, 44, v51
	v_mad_u64_u32 v[31:32], null, s3, v33, s[12:13]
	v_mov_b32_e32 v216, 0
	v_mov_b32_e32 v214, 0
	v_mad_u64_u32 v[32:33], null, s3, v0, s[12:13]
	v_or_b32_e32 v0, 40, v51
	v_dual_mov_b32 v251, 0 :: v_dual_mov_b32 v212, 0
	v_dual_mov_b32 v249, 0 :: v_dual_mov_b32 v210, 0
	s_delay_alu instid0(VALU_DEP_3) | instskip(SKIP_3) | instid1(VALU_DEP_3)
	v_mad_u64_u32 v[33:34], null, s3, v0, s[12:13]
	v_or_b32_e32 v0, 34, v51
	v_mad_u64_u32 v[34:35], null, s3, v37, s[12:13]
	v_dual_mov_b32 v247, 0 :: v_dual_mov_b32 v208, 0
	v_mad_u64_u32 v[35:36], null, s3, v0, s[12:13]
	v_or_b32_e32 v0, 28, v51
	v_mad_u64_u32 v[36:37], null, s3, v39, s[12:13]
	v_mov_b32_e32 v245, 0
	v_mov_b32_e32 v243, 0
	s_delay_alu instid0(VALU_DEP_4) | instskip(SKIP_3) | instid1(VALU_DEP_3)
	v_mad_u64_u32 v[37:38], null, s3, v0, s[12:13]
	v_or_b32_e32 v0, 24, v51
	v_mad_u64_u32 v[38:39], null, s3, v41, s[12:13]
	v_dual_mov_b32 v241, 0 :: v_dual_mov_b32 v206, 0
	v_mad_u64_u32 v[39:40], null, s3, v0, s[12:13]
	v_or_b32_e32 v0, 18, v51
	v_mad_u64_u32 v[40:41], null, s3, v43, s[12:13]
	v_dual_mov_b32 v227, 0 :: v_dual_mov_b32 v204, 0
	s_delay_alu instid0(VALU_DEP_3) | instskip(SKIP_3) | instid1(VALU_DEP_3)
	v_mad_u64_u32 v[41:42], null, s3, v0, s[12:13]
	v_or_b32_e32 v0, 12, v51
	v_mad_u64_u32 v[42:43], null, s3, v45, s[12:13]
	v_mad_u64_u32 v[43:44], null, s3, v47, s[12:13]
	;; [unrolled: 1-line block ×3, first 2 shown]
	v_or_b32_e32 v0, 8, v51
	v_mov_b32_e32 v225, 0
	v_mov_b32_e32 v223, 0
	v_dual_mov_b32 v221, 0 :: v_dual_mov_b32 v202, 0
	s_delay_alu instid0(VALU_DEP_4)
	v_mad_u64_u32 v[46:47], null, s3, v0, s[12:13]
	v_dual_mov_b32 v0, 0 :: v_dual_mov_b32 v219, 0
	v_mad_u64_u32 v[47:48], null, s3, v49, s[12:13]
	v_mov_b32_e32 v217, 0
	scratch_store_b32 off, v0, off offset:396 ; 4-byte Folded Spill
	v_mov_b32_e32 v0, 0
	v_mov_b32_e32 v200, 0
	v_dual_mov_b32 v198, 0 :: v_dual_mov_b32 v215, 0
	v_mov_b32_e32 v252, 0
	scratch_store_b32 off, v0, off offset:404 ; 4-byte Folded Spill
	v_mov_b32_e32 v0, 0
	v_dual_mov_b32 v194, 0 :: v_dual_mov_b32 v213, 0
	v_mov_b32_e32 v192, 0
	v_mov_b32_e32 v190, 0
	scratch_store_b32 off, v0, off offset:400 ; 4-byte Folded Spill
	v_dual_mov_b32 v0, 0 :: v_dual_mov_b32 v211, 0
	v_mov_b32_e32 v188, 0
	v_mov_b32_e32 v186, 0
	;; [unrolled: 1-line block ×3, first 2 shown]
	scratch_store_b32 off, v0, off offset:392 ; 4-byte Folded Spill
	v_dual_mov_b32 v0, 0 :: v_dual_mov_b32 v209, 0
	v_mov_b32_e32 v182, 0
	v_mov_b32_e32 v180, 0
	;; [unrolled: 1-line block ×3, first 2 shown]
	scratch_store_b32 off, v0, off offset:388 ; 4-byte Folded Spill
	v_dual_mov_b32 v0, 0 :: v_dual_mov_b32 v207, 0
	s_lshl_b32 s1, s3, 7
	scratch_store_b32 off, v50, off offset:416 ; 4-byte Folded Spill
	v_mov_b32_e32 v205, 0
	scratch_store_b32 off, v0, off offset:384 ; 4-byte Folded Spill
	v_dual_mov_b32 v0, 0 :: v_dual_mov_b32 v203, 0
	v_mov_b32_e32 v201, 0
	v_mov_b32_e32 v199, 0
	v_mov_b32_e32 v253, 0
	scratch_store_b32 off, v0, off offset:380 ; 4-byte Folded Spill
	v_dual_mov_b32 v0, 0 :: v_dual_mov_b32 v195, 0
	v_mov_b32_e32 v193, 0
	v_mov_b32_e32 v191, 0
	;; [unrolled: 5-line block ×4, first 2 shown]
	v_mov_b32_e32 v49, 0
	scratch_store_b32 off, v0, off offset:368 ; 4-byte Folded Spill
	v_mov_b32_e32 v0, 0
	scratch_store_b32 off, v13, off offset:440 ; 4-byte Folded Spill
	v_mov_b32_e32 v13, 0
	s_clause 0x1                            ; 8-byte Folded Spill
	scratch_store_b32 off, v49, off offset:436
	scratch_store_b32 off, v0, off offset:364
	v_dual_mov_b32 v0, 0 :: v_dual_mov_b32 v49, 0
	scratch_store_b32 off, v0, off offset:360 ; 4-byte Folded Spill
	v_mov_b32_e32 v0, 0
	scratch_store_b32 off, v49, off offset:428 ; 4-byte Folded Spill
	v_mov_b32_e32 v49, 0
	;; [unrolled: 2-line block ×6, first 2 shown]
	s_clause 0x2                            ; 12-byte Folded Spill
	scratch_store_b32 off, v49, off offset:408
	scratch_store_b32 off, v51, off offset:504
	scratch_store_b32 off, v0, off offset:348
	v_mov_b32_e32 v0, 0
	v_mad_u64_u32 v[48:49], null, s3, v51, s[12:13]
	s_mov_b32 s12, 0
	scratch_store_b32 off, v0, off offset:344 ; 4-byte Folded Spill
	v_mov_b32_e32 v0, 0
	scratch_store_b32 off, v0, off offset:340 ; 4-byte Folded Spill
	v_mov_b32_e32 v0, 0
	;; [unrolled: 2-line block ×36, first 2 shown]
	s_clause 0x1                            ; 8-byte Folded Spill
	scratch_store_b32 off, v0, off offset:200
	scratch_store_b32 off, v13, off offset:444
	v_mov_b32_e32 v0, 0
	s_branch .LBB0_3
.LBB0_2:                                ;   in Loop: Header=BB0_3 Depth=1
	.loc	1 0 22 is_stmt 0                ; layer_norm_bwd.py:0:22
	s_or_b32 exec_lo, exec_lo, s13
	.loc	1 90 14 is_stmt 1               ; layer_norm_bwd.py:90:14
	s_clause 0x1                            ; 8-byte Folded Reload
	scratch_load_b32 v115, off, off offset:16
	scratch_load_b32 v52, off, off offset:188
	v_dual_add_f32 v181, v181, v13 :: v_dual_add_f32 v180, v180, v44
	scratch_load_b32 v13, off, off offset:440 ; 4-byte Folded Reload
	.loc	1 91 14                         ; layer_norm_bwd.py:91:14
	s_waitcnt vmcnt(3)
	v_add_f32_e32 v248, v248, v107
	v_add_f32_e32 v244, v244, v111
	.loc	1 86 25                         ; layer_norm_bwd.py:86:25
	v_add_nc_u32_e32 v24, s1, v24
	v_add_nc_u32_e32 v28, s1, v28
	;; [unrolled: 1-line block ×11, first 2 shown]
	s_addk_i32 s12, 0x80
	.loc	1 90 14                         ; layer_norm_bwd.py:90:14
	v_add_f32_e32 v183, v183, v231
	.loc	1 86 25                         ; layer_norm_bwd.py:86:25
	s_cmp_lt_i32 s12, s2
	v_add_nc_u32_e32 v3, s1, v3
	v_add_nc_u32_e32 v7, s1, v7
	;; [unrolled: 1-line block ×12, first 2 shown]
	.loc	1 90 14                         ; layer_norm_bwd.py:90:14
	v_add_f32_e32 v185, v185, v229
	.loc	1 91 14                         ; layer_norm_bwd.py:91:14
	v_dual_add_f32 v251, v251, v102 :: v_dual_add_f32 v184, v184, v232
	v_dual_add_f32 v249, v249, v104 :: v_dual_add_f32 v182, v182, v233
	v_add_f32_e32 v247, v247, v106
	.loc	1 90 14                         ; layer_norm_bwd.py:90:14
	v_dual_add_f32 v0, v0, v26 :: v_dual_add_f32 v245, v245, v108
	v_add_f32_e32 v254, v254, v118
	.loc	1 91 14                         ; layer_norm_bwd.py:91:14
	v_dual_add_f32 v243, v243, v110 :: v_dual_add_f32 v250, v250, v105
	v_dual_add_f32 v241, v241, v112 :: v_dual_add_f32 v246, v246, v109
	.loc	1 86 25                         ; layer_norm_bwd.py:86:25
	v_add_nc_u32_e32 v5, s1, v5
	.loc	1 91 14                         ; layer_norm_bwd.py:91:14
	v_add_f32_e32 v242, v242, v113
	v_dual_add_f32 v240, v240, v114 :: v_dual_add_nc_u32 v9, s1, v9
	.loc	1 86 25                         ; layer_norm_bwd.py:86:25
	v_add_nc_u32_e32 v17, s1, v17
	v_add_nc_u32_e32 v21, s1, v21
	;; [unrolled: 1-line block ×18, first 2 shown]
	.loc	1 90 14                         ; layer_norm_bwd.py:90:14
	s_waitcnt vmcnt(1)
	v_add_f32_e32 v186, v186, v52
	scratch_load_b32 v52, off, off offset:436 ; 4-byte Folded Reload
	v_add_f32_e32 v255, v255, v45
	scratch_load_b64 v[44:45], off, off offset:472 ; 8-byte Folded Reload
	s_waitcnt vmcnt(1)
	v_add_f32_e32 v52, v52, v119
	s_waitcnt vmcnt(0)
	v_mov_b32_e32 v45, v44
	scratch_store_b32 off, v52, off offset:436 ; 4-byte Folded Spill
	scratch_load_b32 v52, off, off offset:428 ; 4-byte Folded Reload
	v_add_f32_e32 v13, v13, v48
	s_waitcnt vmcnt(0)
	v_dual_add_f32 v52, v52, v239 :: v_dual_add_nc_u32 v45, s1, v45
	scratch_store_b32 off, v52, off offset:428 ; 4-byte Folded Spill
	scratch_load_b32 v52, off, off offset:420 ; 4-byte Folded Reload
	s_waitcnt vmcnt(0)
	v_dual_add_f32 v179, v179, v235 :: v_dual_add_f32 v52, v52, v236
	scratch_store_b32 off, v52, off offset:420 ; 4-byte Folded Spill
	scratch_load_b32 v52, off, off offset:412 ; 4-byte Folded Reload
	s_waitcnt vmcnt(0)
	v_add_f32_e32 v52, v52, v146
	scratch_store_b32 off, v13, off offset:440 ; 4-byte Folded Spill
	scratch_load_b32 v13, off, off offset:444 ; 4-byte Folded Reload
	scratch_store_b32 off, v52, off offset:412 ; 4-byte Folded Spill
	scratch_load_b32 v52, off, off offset:408 ; 4-byte Folded Reload
	s_waitcnt vmcnt(1)
	v_add_f32_e32 v13, v13, v49
	scratch_load_b64 v[48:49], off, off offset:488 ; 8-byte Folded Reload
	s_waitcnt vmcnt(1)
	v_add_f32_e32 v52, v52, v147
	s_clause 0x1                            ; 8-byte Folded Spill
	scratch_store_b32 off, v13, off offset:444
	scratch_store_b32 off, v52, off offset:408
	s_clause 0x1                            ; 8-byte Folded Reload
	scratch_load_b32 v52, off, off offset:432
	scratch_load_b32 v13, off, off offset:192
	.loc	1 86 25                         ; layer_norm_bwd.py:86:25
	s_waitcnt vmcnt(2)
	v_add_nc_u32_e32 v48, s1, v48
	.loc	1 90 14                         ; layer_norm_bwd.py:90:14
	s_waitcnt vmcnt(0)
	v_add_f32_e32 v52, v52, v13
	scratch_store_b32 off, v52, off offset:432 ; 4-byte Folded Spill
	scratch_load_b32 v52, off, off offset:424 ; 4-byte Folded Reload
	s_waitcnt vmcnt(0)
	v_add_f32_e32 v52, v52, v237
	scratch_store_b32 off, v52, off offset:424 ; 4-byte Folded Spill
	s_clause 0x1                            ; 8-byte Folded Reload
	scratch_load_b32 v52, off, off offset:416
	scratch_load_b32 v13, off, off offset:196
	s_waitcnt vmcnt(0)
	v_add_f32_e32 v52, v52, v13
	.loc	1 91 14                         ; layer_norm_bwd.py:91:14
	scratch_store_b32 off, v52, off offset:416 ; 4-byte Folded Spill
	scratch_load_b32 v52, off, off offset:396 ; 4-byte Folded Reload
	s_waitcnt vmcnt(0)
	v_add_f32_e32 v52, v52, v238
	scratch_store_b32 off, v52, off offset:396 ; 4-byte Folded Spill
	scratch_load_b32 v52, off, off offset:404 ; 4-byte Folded Reload
	s_waitcnt vmcnt(0)
	v_add_f32_e32 v52, v52, v51
	scratch_load_b32 v51, off, off offset:400 ; 4-byte Folded Reload
	s_waitcnt vmcnt(0)
	v_add_f32_e32 v51, v51, v50
	;; [unrolled: 3-line block ×3, first 2 shown]
	scratch_store_b32 off, v50, off offset:392 ; 4-byte Folded Spill
	scratch_load_b32 v50, off, off offset:388 ; 4-byte Folded Reload
	s_waitcnt vmcnt(0)
	v_add_f32_e32 v50, v50, v54
	scratch_store_b32 off, v50, off offset:388 ; 4-byte Folded Spill
	scratch_load_b32 v50, off, off offset:384 ; 4-byte Folded Reload
	s_waitcnt vmcnt(0)
	v_add_f32_e32 v50, v50, v57
	;; [unrolled: 4-line block ×3, first 2 shown]
	scratch_load_b64 v[55:56], off, off offset:464 ; 8-byte Folded Reload
	scratch_store_b32 off, v50, off offset:380 ; 4-byte Folded Spill
	scratch_load_b32 v50, off, off offset:376 ; 4-byte Folded Reload
	.loc	1 86 25                         ; layer_norm_bwd.py:86:25
	s_waitcnt vmcnt(1)
	v_add_nc_u32_e32 v55, s1, v55
	.loc	1 91 14                         ; layer_norm_bwd.py:91:14
	s_waitcnt vmcnt(0)
	v_add_f32_e32 v50, v50, v59
	scratch_store_b32 off, v50, off offset:376 ; 4-byte Folded Spill
	scratch_load_b32 v50, off, off offset:372 ; 4-byte Folded Reload
	s_waitcnt vmcnt(0)
	v_add_f32_e32 v50, v50, v58
	scratch_store_b32 off, v50, off offset:372 ; 4-byte Folded Spill
	scratch_load_b32 v50, off, off offset:368 ; 4-byte Folded Reload
	;; [unrolled: 4-line block ×44, first 2 shown]
	s_waitcnt vmcnt(0)
	v_add_f32_e32 v50, v50, v103
	s_clause 0x1                            ; 8-byte Folded Spill
	scratch_store_b32 off, v51, off offset:400
	scratch_store_b32 off, v50, off offset:200
	.loc	1 86 25                         ; layer_norm_bwd.py:86:25
	scratch_load_b64 v[50:51], off, off     ; 8-byte Folded Reload
	.loc	1 90 14                         ; layer_norm_bwd.py:90:14
	v_add_f32_e32 v230, v230, v115
	scratch_load_b32 v115, off, off offset:24 ; 4-byte Folded Reload
	.loc	1 86 25                         ; layer_norm_bwd.py:86:25
	s_waitcnt vmcnt(1)
	v_add_nc_u32_e32 v50, s1, v50
	.loc	1 91 14                         ; layer_norm_bwd.py:91:14
	scratch_store_b32 off, v52, off offset:404 ; 4-byte Folded Spill
	.loc	1 90 14                         ; layer_norm_bwd.py:90:14
	s_waitcnt vmcnt(0)
	v_add_f32_e32 v228, v228, v115
	scratch_load_b32 v115, off, off offset:20 ; 4-byte Folded Reload
	.loc	1 86 25                         ; layer_norm_bwd.py:86:25
	scratch_store_b64 off, v[50:51], off    ; 8-byte Folded Spill
	scratch_load_b64 v[50:51], off, off offset:8 ; 8-byte Folded Reload
	.loc	1 90 14                         ; layer_norm_bwd.py:90:14
	s_waitcnt vmcnt(1)
	v_add_f32_e32 v227, v227, v115
	scratch_load_b32 v115, off, off offset:32 ; 4-byte Folded Reload
	.loc	1 86 25                         ; layer_norm_bwd.py:86:25
	s_waitcnt vmcnt(1)
	v_add_nc_u32_e32 v50, s1, v50
	scratch_store_b64 off, v[50:51], off offset:8 ; 8-byte Folded Spill
	.loc	1 90 14                         ; layer_norm_bwd.py:90:14
	s_waitcnt vmcnt(0)
	v_add_f32_e32 v226, v226, v115
	scratch_load_b32 v115, off, off offset:28 ; 4-byte Folded Reload
	s_waitcnt vmcnt(0)
	v_add_f32_e32 v225, v225, v115
	scratch_load_b32 v115, off, off offset:40 ; 4-byte Folded Reload
	;; [unrolled: 3-line block ×39, first 2 shown]
	s_waitcnt vmcnt(0)
	v_add_f32_e32 v187, v187, v115
	.loc	1 86 25                         ; layer_norm_bwd.py:86:25
	s_cbranch_scc0 .LBB0_259
.LBB0_3:                                ; %.lr.ph
                                        ; =>This Inner Loop Header: Depth=1
	.loc	1 87 19                         ; layer_norm_bwd.py:87:19
	scratch_load_b32 v50, off, off offset:504 ; 4-byte Folded Reload
	v_dual_mov_b32 v52, 0 :: v_dual_mov_b32 v13, v48
	.loc	1 88 38                         ; layer_norm_bwd.py:88:38
	s_clause 0x1                            ; 12-byte Folded Spill
	scratch_store_b32 off, v52, off offset:16
	scratch_store_b64 off, v[13:14], off offset:488
	.loc	1 87 19                         ; layer_norm_bwd.py:87:19
	s_waitcnt vmcnt(0)
	v_add_nc_u32_e32 v176, s12, v50
	.loc	1 89 35                         ; layer_norm_bwd.py:89:35
	v_add_nc_u32_e32 v50, v178, v48
	s_delay_alu instid0(VALU_DEP_2) | instskip(NEXT) | instid1(VALU_DEP_2)
	.loc	1 88 32                         ; layer_norm_bwd.py:88:32
	v_cmp_gt_i32_e64 s0, s2, v176
	v_ashrrev_i32_e32 v51, 31, v50
	.loc	1 88 38 is_stmt 0               ; layer_norm_bwd.py:88:38
	s_and_b32 s13, vcc_lo, s0
	s_delay_alu instid0(SALU_CYCLE_1)
	.loc	1 90 22 is_stmt 1               ; layer_norm_bwd.py:90:22
	s_and_saveexec_b32 s14, s13
	s_cbranch_execz .LBB0_5
; %bb.4:                                ;   in Loop: Header=BB0_3 Depth=1
	.loc	1 0 22 is_stmt 0                ; layer_norm_bwd.py:0:22
	s_delay_alu instid0(VALU_DEP_1) | instskip(SKIP_1) | instid1(VALU_DEP_1)
	v_lshlrev_b64 v[52:53], 2, v[50:51]
	s_waitcnt lgkmcnt(0)
	v_add_co_u32 v52, s0, s8, v52
	s_delay_alu instid0(VALU_DEP_1)
	v_add_co_ci_u32_e64 v53, null, s9, v53, s0
	.loc	1 90 22                         ; layer_norm_bwd.py:90:22
	global_load_b32 v52, v[52:53], off
	s_waitcnt vmcnt(0)
	scratch_store_b32 off, v52, off offset:16 ; 4-byte Folded Spill
.LBB0_5:                                ;   in Loop: Header=BB0_3 Depth=1
	.loc	1 0 22                          ; layer_norm_bwd.py:0:22
	s_or_b32 exec_lo, exec_lo, s14
	.loc	1 89 35 is_stmt 1               ; layer_norm_bwd.py:89:35
	v_add_nc_u32_e32 v52, v178, v234
	.loc	1 87 19                         ; layer_norm_bwd.py:87:19
	v_add_nc_u32_e32 v54, 2, v176
	s_delay_alu instid0(VALU_DEP_2) | instskip(NEXT) | instid1(VALU_DEP_2)
	.loc	1 90 27                         ; layer_norm_bwd.py:90:27
	v_ashrrev_i32_e32 v53, 31, v52
	.loc	1 88 32                         ; layer_norm_bwd.py:88:32
	v_cmp_gt_i32_e64 s0, s2, v54
	v_mov_b32_e32 v54, 0
	s_delay_alu instid0(VALU_DEP_3)
	v_lshlrev_b64 v[52:53], 2, v[52:53]
	.loc	1 88 38 is_stmt 0               ; layer_norm_bwd.py:88:38
	s_and_b32 s14, vcc_lo, s0
	scratch_store_b64 off, v[52:53], off offset:448 ; 8-byte Folded Spill
	v_mov_b32_e32 v52, 0
	s_clause 0x1                            ; 8-byte Folded Spill
	scratch_store_b32 off, v54, off offset:20
	scratch_store_b32 off, v52, off offset:24
	.loc	1 90 22 is_stmt 1               ; layer_norm_bwd.py:90:22
	s_and_saveexec_b32 s15, s14
	s_cbranch_execz .LBB0_7
; %bb.6:                                ;   in Loop: Header=BB0_3 Depth=1
	.loc	1 0 22 is_stmt 0                ; layer_norm_bwd.py:0:22
	scratch_load_b64 v[52:53], off, off offset:448 ; 8-byte Folded Reload
	.loc	1 90 27                         ; layer_norm_bwd.py:90:27
	s_waitcnt vmcnt(0) lgkmcnt(0)
	v_add_co_u32 v52, s0, s8, v52
	s_delay_alu instid0(VALU_DEP_1)
	v_add_co_ci_u32_e64 v53, null, s9, v53, s0
	.loc	1 90 22                         ; layer_norm_bwd.py:90:22
	global_load_b32 v52, v[52:53], off
	s_waitcnt vmcnt(0)
	scratch_store_b32 off, v52, off offset:24 ; 4-byte Folded Spill
.LBB0_7:                                ;   in Loop: Header=BB0_3 Depth=1
	.loc	1 0 22                          ; layer_norm_bwd.py:0:22
	s_or_b32 exec_lo, exec_lo, s15
	.loc	1 89 35 is_stmt 1               ; layer_norm_bwd.py:89:35
	v_add_nc_u32_e32 v52, v178, v47
	.loc	1 87 19                         ; layer_norm_bwd.py:87:19
	v_add_nc_u32_e32 v54, 4, v176
	s_delay_alu instid0(VALU_DEP_2) | instskip(NEXT) | instid1(VALU_DEP_2)
	.loc	1 90 27                         ; layer_norm_bwd.py:90:27
	v_ashrrev_i32_e32 v53, 31, v52
	.loc	1 88 32                         ; layer_norm_bwd.py:88:32
	v_cmp_gt_i32_e64 s0, s2, v54
	s_delay_alu instid0(VALU_DEP_2)
	v_lshlrev_b64 v[52:53], 2, v[52:53]
	.loc	1 88 38 is_stmt 0               ; layer_norm_bwd.py:88:38
	s_and_b32 s15, vcc_lo, s0
	scratch_store_b64 off, v[52:53], off offset:456 ; 8-byte Folded Spill
	.loc	1 90 22 is_stmt 1               ; layer_norm_bwd.py:90:22
	s_and_saveexec_b32 s16, s15
	s_cbranch_execz .LBB0_9
; %bb.8:                                ;   in Loop: Header=BB0_3 Depth=1
	.loc	1 0 22 is_stmt 0                ; layer_norm_bwd.py:0:22
	scratch_load_b64 v[52:53], off, off offset:456 ; 8-byte Folded Reload
	.loc	1 90 27                         ; layer_norm_bwd.py:90:27
	s_waitcnt vmcnt(0) lgkmcnt(0)
	v_add_co_u32 v52, s0, s8, v52
	s_delay_alu instid0(VALU_DEP_1)
	v_add_co_ci_u32_e64 v53, null, s9, v53, s0
	.loc	1 90 22                         ; layer_norm_bwd.py:90:22
	global_load_b32 v52, v[52:53], off
	s_waitcnt vmcnt(0)
	scratch_store_b32 off, v52, off offset:20 ; 4-byte Folded Spill
.LBB0_9:                                ;   in Loop: Header=BB0_3 Depth=1
	.loc	1 0 22                          ; layer_norm_bwd.py:0:22
	s_or_b32 exec_lo, exec_lo, s16
	.loc	1 87 19 is_stmt 1               ; layer_norm_bwd.py:87:19
	v_or_b32_e32 v56, 6, v176
	v_mov_b32_e32 v54, 0
	s_delay_alu instid0(VALU_DEP_2) | instskip(SKIP_3) | instid1(VALU_DEP_1)
	.loc	1 89 35                         ; layer_norm_bwd.py:89:35
	v_mad_u64_u32 v[52:53], null, v56, s3, v[1:2]
	.loc	1 88 32                         ; layer_norm_bwd.py:88:32
	v_cmp_gt_i32_e64 s0, s2, v56
	.loc	1 88 38 is_stmt 0               ; layer_norm_bwd.py:88:38
	s_and_b32 s16, vcc_lo, s0
	.loc	1 90 27 is_stmt 1               ; layer_norm_bwd.py:90:27
	v_ashrrev_i32_e32 v53, 31, v52
	v_lshlrev_b64 v[196:197], 2, v[52:53]
	v_mov_b32_e32 v52, 0
	.loc	1 88 38                         ; layer_norm_bwd.py:88:38
	s_clause 0x1                            ; 8-byte Folded Spill
	scratch_store_b32 off, v54, off offset:28
	scratch_store_b32 off, v52, off offset:32
	.loc	1 90 22                         ; layer_norm_bwd.py:90:22
	s_and_saveexec_b32 s17, s16
	s_cbranch_execz .LBB0_11
; %bb.10:                               ;   in Loop: Header=BB0_3 Depth=1
	.loc	1 90 27 is_stmt 0               ; layer_norm_bwd.py:90:27
	s_waitcnt lgkmcnt(0)
	v_add_co_u32 v52, s0, s8, v196
	s_delay_alu instid0(VALU_DEP_1)
	v_add_co_ci_u32_e64 v53, null, s9, v197, s0
	.loc	1 90 22                         ; layer_norm_bwd.py:90:22
	global_load_b32 v52, v[52:53], off
	s_waitcnt vmcnt(0)
	scratch_store_b32 off, v52, off offset:32 ; 4-byte Folded Spill
.LBB0_11:                               ;   in Loop: Header=BB0_3 Depth=1
	.loc	1 0 22                          ; layer_norm_bwd.py:0:22
	s_or_b32 exec_lo, exec_lo, s17
	.loc	1 89 35 is_stmt 1               ; layer_norm_bwd.py:89:35
	v_add_nc_u32_e32 v52, v178, v46
	.loc	1 87 19                         ; layer_norm_bwd.py:87:19
	v_add_nc_u32_e32 v58, 8, v176
	s_delay_alu instid0(VALU_DEP_2) | instskip(NEXT) | instid1(VALU_DEP_2)
	.loc	1 90 27                         ; layer_norm_bwd.py:90:27
	v_ashrrev_i32_e32 v53, 31, v52
	.loc	1 88 32                         ; layer_norm_bwd.py:88:32
	v_cmp_gt_i32_e64 s0, s2, v58
	s_delay_alu instid0(VALU_DEP_2) | instskip(SKIP_1) | instid1(SALU_CYCLE_1)
	v_lshlrev_b64 v[58:59], 2, v[52:53]
	.loc	1 88 38 is_stmt 0               ; layer_norm_bwd.py:88:38
	s_and_b32 s17, vcc_lo, s0
	.loc	1 90 22 is_stmt 1               ; layer_norm_bwd.py:90:22
	s_and_saveexec_b32 s18, s17
	s_cbranch_execz .LBB0_13
; %bb.12:                               ;   in Loop: Header=BB0_3 Depth=1
	.loc	1 90 27 is_stmt 0               ; layer_norm_bwd.py:90:27
	s_waitcnt lgkmcnt(0)
	s_delay_alu instid0(VALU_DEP_1) | instskip(NEXT) | instid1(VALU_DEP_1)
	v_add_co_u32 v52, s0, s8, v58
	v_add_co_ci_u32_e64 v53, null, s9, v59, s0
	.loc	1 90 22                         ; layer_norm_bwd.py:90:22
	global_load_b32 v52, v[52:53], off
	s_waitcnt vmcnt(0)
	scratch_store_b32 off, v52, off offset:28 ; 4-byte Folded Spill
.LBB0_13:                               ;   in Loop: Header=BB0_3 Depth=1
	.loc	1 0 22                          ; layer_norm_bwd.py:0:22
	s_or_b32 exec_lo, exec_lo, s18
	.loc	1 89 35 is_stmt 1               ; layer_norm_bwd.py:89:35
	v_add_nc_u32_e32 v52, v178, v43
	.loc	1 87 19                         ; layer_norm_bwd.py:87:19
	v_add_nc_u32_e32 v60, 10, v176
	v_mov_b32_e32 v54, 0
	s_delay_alu instid0(VALU_DEP_3) | instskip(NEXT) | instid1(VALU_DEP_3)
	.loc	1 90 27                         ; layer_norm_bwd.py:90:27
	v_ashrrev_i32_e32 v53, 31, v52
	.loc	1 88 32                         ; layer_norm_bwd.py:88:32
	v_cmp_gt_i32_e64 s0, s2, v60
	s_delay_alu instid0(VALU_DEP_2)
	v_lshlrev_b64 v[60:61], 2, v[52:53]
	v_mov_b32_e32 v52, 0
	.loc	1 88 38 is_stmt 0               ; layer_norm_bwd.py:88:38
	s_and_b32 s18, vcc_lo, s0
	s_clause 0x1                            ; 8-byte Folded Spill
	scratch_store_b32 off, v54, off offset:36
	scratch_store_b32 off, v52, off offset:40
	.loc	1 90 22 is_stmt 1               ; layer_norm_bwd.py:90:22
	s_and_saveexec_b32 s19, s18
	s_cbranch_execz .LBB0_15
; %bb.14:                               ;   in Loop: Header=BB0_3 Depth=1
	.loc	1 90 27 is_stmt 0               ; layer_norm_bwd.py:90:27
	s_waitcnt lgkmcnt(0)
	v_add_co_u32 v52, s0, s8, v60
	s_delay_alu instid0(VALU_DEP_1)
	v_add_co_ci_u32_e64 v53, null, s9, v61, s0
	.loc	1 90 22                         ; layer_norm_bwd.py:90:22
	global_load_b32 v52, v[52:53], off
	s_waitcnt vmcnt(0)
	scratch_store_b32 off, v52, off offset:40 ; 4-byte Folded Spill
.LBB0_15:                               ;   in Loop: Header=BB0_3 Depth=1
	.loc	1 0 22                          ; layer_norm_bwd.py:0:22
	s_or_b32 exec_lo, exec_lo, s19
	v_dual_mov_b32 v13, v45 :: v_dual_add_nc_u32 v52, v178, v45
	.loc	1 87 19 is_stmt 1               ; layer_norm_bwd.py:87:19
	v_add_nc_u32_e32 v62, 12, v176
	.loc	1 89 35                         ; layer_norm_bwd.py:89:35
	scratch_store_b64 off, v[13:14], off offset:472 ; 8-byte Folded Spill
	.loc	1 90 27                         ; layer_norm_bwd.py:90:27
	v_ashrrev_i32_e32 v53, 31, v52
	.loc	1 88 32                         ; layer_norm_bwd.py:88:32
	v_cmp_gt_i32_e64 s0, s2, v62
	s_delay_alu instid0(VALU_DEP_2) | instskip(SKIP_1) | instid1(SALU_CYCLE_1)
	v_lshlrev_b64 v[62:63], 2, v[52:53]
	.loc	1 88 38 is_stmt 0               ; layer_norm_bwd.py:88:38
	s_and_b32 s19, vcc_lo, s0
	.loc	1 90 22 is_stmt 1               ; layer_norm_bwd.py:90:22
	s_and_saveexec_b32 s20, s19
	s_cbranch_execz .LBB0_17
; %bb.16:                               ;   in Loop: Header=BB0_3 Depth=1
	.loc	1 90 27 is_stmt 0               ; layer_norm_bwd.py:90:27
	s_waitcnt lgkmcnt(0)
	s_delay_alu instid0(VALU_DEP_1) | instskip(NEXT) | instid1(VALU_DEP_1)
	v_add_co_u32 v52, s0, s8, v62
	v_add_co_ci_u32_e64 v53, null, s9, v63, s0
	.loc	1 90 22                         ; layer_norm_bwd.py:90:22
	global_load_b32 v52, v[52:53], off
	s_waitcnt vmcnt(0)
	scratch_store_b32 off, v52, off offset:36 ; 4-byte Folded Spill
.LBB0_17:                               ;   in Loop: Header=BB0_3 Depth=1
	.loc	1 0 22                          ; layer_norm_bwd.py:0:22
	s_or_b32 exec_lo, exec_lo, s20
	.loc	1 87 19 is_stmt 1               ; layer_norm_bwd.py:87:19
	v_or_b32_e32 v64, 14, v176
	v_mov_b32_e32 v54, 0
	s_delay_alu instid0(VALU_DEP_2) | instskip(SKIP_3) | instid1(VALU_DEP_1)
	.loc	1 89 35                         ; layer_norm_bwd.py:89:35
	v_mad_u64_u32 v[52:53], null, v64, s3, v[1:2]
	.loc	1 88 32                         ; layer_norm_bwd.py:88:32
	v_cmp_gt_i32_e64 s0, s2, v64
	.loc	1 88 38 is_stmt 0               ; layer_norm_bwd.py:88:38
	s_and_b32 s20, vcc_lo, s0
	.loc	1 90 27 is_stmt 1               ; layer_norm_bwd.py:90:27
	v_ashrrev_i32_e32 v53, 31, v52
	v_lshlrev_b64 v[64:65], 2, v[52:53]
	v_mov_b32_e32 v52, 0
	.loc	1 88 38                         ; layer_norm_bwd.py:88:38
	s_clause 0x1                            ; 8-byte Folded Spill
	scratch_store_b32 off, v54, off offset:44
	scratch_store_b32 off, v52, off offset:48
	.loc	1 90 22                         ; layer_norm_bwd.py:90:22
	s_and_saveexec_b32 s21, s20
	s_cbranch_execz .LBB0_19
; %bb.18:                               ;   in Loop: Header=BB0_3 Depth=1
	.loc	1 90 27 is_stmt 0               ; layer_norm_bwd.py:90:27
	s_waitcnt lgkmcnt(0)
	v_add_co_u32 v52, s0, s8, v64
	s_delay_alu instid0(VALU_DEP_1)
	v_add_co_ci_u32_e64 v53, null, s9, v65, s0
	.loc	1 90 22                         ; layer_norm_bwd.py:90:22
	global_load_b32 v52, v[52:53], off
	s_waitcnt vmcnt(0)
	scratch_store_b32 off, v52, off offset:48 ; 4-byte Folded Spill
.LBB0_19:                               ;   in Loop: Header=BB0_3 Depth=1
	.loc	1 0 22                          ; layer_norm_bwd.py:0:22
	s_or_b32 exec_lo, exec_lo, s21
	.loc	1 89 35 is_stmt 1               ; layer_norm_bwd.py:89:35
	v_add_nc_u32_e32 v52, v178, v42
	.loc	1 87 19                         ; layer_norm_bwd.py:87:19
	v_add_nc_u32_e32 v66, 16, v176
	s_delay_alu instid0(VALU_DEP_2) | instskip(NEXT) | instid1(VALU_DEP_2)
	.loc	1 90 27                         ; layer_norm_bwd.py:90:27
	v_ashrrev_i32_e32 v53, 31, v52
	.loc	1 88 32                         ; layer_norm_bwd.py:88:32
	v_cmp_gt_i32_e64 s0, s2, v66
	s_delay_alu instid0(VALU_DEP_2) | instskip(SKIP_1) | instid1(SALU_CYCLE_1)
	v_lshlrev_b64 v[66:67], 2, v[52:53]
	.loc	1 88 38 is_stmt 0               ; layer_norm_bwd.py:88:38
	s_and_b32 s21, vcc_lo, s0
	.loc	1 90 22 is_stmt 1               ; layer_norm_bwd.py:90:22
	s_and_saveexec_b32 s22, s21
	s_cbranch_execz .LBB0_21
; %bb.20:                               ;   in Loop: Header=BB0_3 Depth=1
	.loc	1 90 27 is_stmt 0               ; layer_norm_bwd.py:90:27
	s_waitcnt lgkmcnt(0)
	s_delay_alu instid0(VALU_DEP_1) | instskip(NEXT) | instid1(VALU_DEP_1)
	v_add_co_u32 v52, s0, s8, v66
	v_add_co_ci_u32_e64 v53, null, s9, v67, s0
	.loc	1 90 22                         ; layer_norm_bwd.py:90:22
	global_load_b32 v52, v[52:53], off
	s_waitcnt vmcnt(0)
	scratch_store_b32 off, v52, off offset:44 ; 4-byte Folded Spill
.LBB0_21:                               ;   in Loop: Header=BB0_3 Depth=1
	.loc	1 0 22                          ; layer_norm_bwd.py:0:22
	s_or_b32 exec_lo, exec_lo, s22
	.loc	1 89 35 is_stmt 1               ; layer_norm_bwd.py:89:35
	v_add_nc_u32_e32 v52, v178, v41
	.loc	1 87 19                         ; layer_norm_bwd.py:87:19
	v_add_nc_u32_e32 v68, 18, v176
	v_mov_b32_e32 v54, 0
	s_delay_alu instid0(VALU_DEP_3) | instskip(NEXT) | instid1(VALU_DEP_3)
	.loc	1 90 27                         ; layer_norm_bwd.py:90:27
	v_ashrrev_i32_e32 v53, 31, v52
	.loc	1 88 32                         ; layer_norm_bwd.py:88:32
	v_cmp_gt_i32_e64 s0, s2, v68
	s_delay_alu instid0(VALU_DEP_2)
	v_lshlrev_b64 v[68:69], 2, v[52:53]
	v_mov_b32_e32 v52, 0
	.loc	1 88 38 is_stmt 0               ; layer_norm_bwd.py:88:38
	s_and_b32 s22, vcc_lo, s0
	s_clause 0x1                            ; 8-byte Folded Spill
	scratch_store_b32 off, v54, off offset:52
	scratch_store_b32 off, v52, off offset:56
	.loc	1 90 22 is_stmt 1               ; layer_norm_bwd.py:90:22
	s_and_saveexec_b32 s23, s22
	s_cbranch_execz .LBB0_23
; %bb.22:                               ;   in Loop: Header=BB0_3 Depth=1
	.loc	1 90 27 is_stmt 0               ; layer_norm_bwd.py:90:27
	s_waitcnt lgkmcnt(0)
	v_add_co_u32 v52, s0, s8, v68
	s_delay_alu instid0(VALU_DEP_1)
	v_add_co_ci_u32_e64 v53, null, s9, v69, s0
	.loc	1 90 22                         ; layer_norm_bwd.py:90:22
	global_load_b32 v52, v[52:53], off
	s_waitcnt vmcnt(0)
	scratch_store_b32 off, v52, off offset:56 ; 4-byte Folded Spill
.LBB0_23:                               ;   in Loop: Header=BB0_3 Depth=1
	.loc	1 0 22                          ; layer_norm_bwd.py:0:22
	s_or_b32 exec_lo, exec_lo, s23
	.loc	1 89 35 is_stmt 1               ; layer_norm_bwd.py:89:35
	v_add_nc_u32_e32 v52, v178, v40
	.loc	1 87 19                         ; layer_norm_bwd.py:87:19
	v_add_nc_u32_e32 v70, 20, v176
	s_delay_alu instid0(VALU_DEP_2) | instskip(NEXT) | instid1(VALU_DEP_2)
	.loc	1 90 27                         ; layer_norm_bwd.py:90:27
	v_ashrrev_i32_e32 v53, 31, v52
	.loc	1 88 32                         ; layer_norm_bwd.py:88:32
	v_cmp_gt_i32_e64 s0, s2, v70
	s_delay_alu instid0(VALU_DEP_2) | instskip(SKIP_1) | instid1(SALU_CYCLE_1)
	v_lshlrev_b64 v[70:71], 2, v[52:53]
	.loc	1 88 38 is_stmt 0               ; layer_norm_bwd.py:88:38
	s_and_b32 s23, vcc_lo, s0
	.loc	1 90 22 is_stmt 1               ; layer_norm_bwd.py:90:22
	s_and_saveexec_b32 s24, s23
	s_cbranch_execz .LBB0_25
; %bb.24:                               ;   in Loop: Header=BB0_3 Depth=1
	.loc	1 90 27 is_stmt 0               ; layer_norm_bwd.py:90:27
	s_waitcnt lgkmcnt(0)
	s_delay_alu instid0(VALU_DEP_1) | instskip(NEXT) | instid1(VALU_DEP_1)
	v_add_co_u32 v52, s0, s8, v70
	v_add_co_ci_u32_e64 v53, null, s9, v71, s0
	.loc	1 90 22                         ; layer_norm_bwd.py:90:22
	global_load_b32 v52, v[52:53], off
	s_waitcnt vmcnt(0)
	scratch_store_b32 off, v52, off offset:52 ; 4-byte Folded Spill
.LBB0_25:                               ;   in Loop: Header=BB0_3 Depth=1
	.loc	1 0 22                          ; layer_norm_bwd.py:0:22
	s_or_b32 exec_lo, exec_lo, s24
	.loc	1 87 19 is_stmt 1               ; layer_norm_bwd.py:87:19
	v_or_b32_e32 v72, 22, v176
	v_mov_b32_e32 v54, 0
	s_delay_alu instid0(VALU_DEP_2) | instskip(SKIP_3) | instid1(VALU_DEP_1)
	.loc	1 89 35                         ; layer_norm_bwd.py:89:35
	v_mad_u64_u32 v[52:53], null, v72, s3, v[1:2]
	.loc	1 88 32                         ; layer_norm_bwd.py:88:32
	v_cmp_gt_i32_e64 s0, s2, v72
	.loc	1 88 38 is_stmt 0               ; layer_norm_bwd.py:88:38
	s_and_b32 s24, vcc_lo, s0
	.loc	1 90 27 is_stmt 1               ; layer_norm_bwd.py:90:27
	v_ashrrev_i32_e32 v53, 31, v52
	v_lshlrev_b64 v[72:73], 2, v[52:53]
	v_mov_b32_e32 v52, 0
	.loc	1 88 38                         ; layer_norm_bwd.py:88:38
	s_clause 0x1                            ; 8-byte Folded Spill
	scratch_store_b32 off, v54, off offset:60
	scratch_store_b32 off, v52, off offset:64
	.loc	1 90 22                         ; layer_norm_bwd.py:90:22
	s_and_saveexec_b32 s25, s24
	s_cbranch_execz .LBB0_27
; %bb.26:                               ;   in Loop: Header=BB0_3 Depth=1
	.loc	1 90 27 is_stmt 0               ; layer_norm_bwd.py:90:27
	s_waitcnt lgkmcnt(0)
	v_add_co_u32 v52, s0, s8, v72
	s_delay_alu instid0(VALU_DEP_1)
	v_add_co_ci_u32_e64 v53, null, s9, v73, s0
	.loc	1 90 22                         ; layer_norm_bwd.py:90:22
	global_load_b32 v52, v[52:53], off
	s_waitcnt vmcnt(0)
	scratch_store_b32 off, v52, off offset:64 ; 4-byte Folded Spill
.LBB0_27:                               ;   in Loop: Header=BB0_3 Depth=1
	.loc	1 0 22                          ; layer_norm_bwd.py:0:22
	s_or_b32 exec_lo, exec_lo, s25
	.loc	1 89 35 is_stmt 1               ; layer_norm_bwd.py:89:35
	v_add_nc_u32_e32 v52, v178, v39
	.loc	1 87 19                         ; layer_norm_bwd.py:87:19
	v_add_nc_u32_e32 v74, 24, v176
	s_delay_alu instid0(VALU_DEP_2) | instskip(NEXT) | instid1(VALU_DEP_2)
	.loc	1 90 27                         ; layer_norm_bwd.py:90:27
	v_ashrrev_i32_e32 v53, 31, v52
	.loc	1 88 32                         ; layer_norm_bwd.py:88:32
	v_cmp_gt_i32_e64 s0, s2, v74
	s_delay_alu instid0(VALU_DEP_2) | instskip(SKIP_1) | instid1(SALU_CYCLE_1)
	v_lshlrev_b64 v[74:75], 2, v[52:53]
	.loc	1 88 38 is_stmt 0               ; layer_norm_bwd.py:88:38
	s_and_b32 s25, vcc_lo, s0
	.loc	1 90 22 is_stmt 1               ; layer_norm_bwd.py:90:22
	s_and_saveexec_b32 s26, s25
	s_cbranch_execz .LBB0_29
; %bb.28:                               ;   in Loop: Header=BB0_3 Depth=1
	.loc	1 90 27 is_stmt 0               ; layer_norm_bwd.py:90:27
	s_waitcnt lgkmcnt(0)
	s_delay_alu instid0(VALU_DEP_1) | instskip(NEXT) | instid1(VALU_DEP_1)
	v_add_co_u32 v52, s0, s8, v74
	v_add_co_ci_u32_e64 v53, null, s9, v75, s0
	.loc	1 90 22                         ; layer_norm_bwd.py:90:22
	global_load_b32 v52, v[52:53], off
	s_waitcnt vmcnt(0)
	scratch_store_b32 off, v52, off offset:60 ; 4-byte Folded Spill
.LBB0_29:                               ;   in Loop: Header=BB0_3 Depth=1
	.loc	1 0 22                          ; layer_norm_bwd.py:0:22
	s_or_b32 exec_lo, exec_lo, s26
	.loc	1 89 35 is_stmt 1               ; layer_norm_bwd.py:89:35
	v_add_nc_u32_e32 v52, v178, v38
	.loc	1 87 19                         ; layer_norm_bwd.py:87:19
	v_add_nc_u32_e32 v76, 26, v176
	v_mov_b32_e32 v54, 0
	s_delay_alu instid0(VALU_DEP_3) | instskip(NEXT) | instid1(VALU_DEP_3)
	.loc	1 90 27                         ; layer_norm_bwd.py:90:27
	v_ashrrev_i32_e32 v53, 31, v52
	.loc	1 88 32                         ; layer_norm_bwd.py:88:32
	v_cmp_gt_i32_e64 s0, s2, v76
	s_delay_alu instid0(VALU_DEP_2)
	v_lshlrev_b64 v[76:77], 2, v[52:53]
	v_mov_b32_e32 v52, 0
	.loc	1 88 38 is_stmt 0               ; layer_norm_bwd.py:88:38
	s_and_b32 s26, vcc_lo, s0
	s_clause 0x1                            ; 8-byte Folded Spill
	scratch_store_b32 off, v54, off offset:68
	scratch_store_b32 off, v52, off offset:72
	.loc	1 90 22 is_stmt 1               ; layer_norm_bwd.py:90:22
	s_and_saveexec_b32 s27, s26
	s_cbranch_execz .LBB0_31
; %bb.30:                               ;   in Loop: Header=BB0_3 Depth=1
	.loc	1 90 27 is_stmt 0               ; layer_norm_bwd.py:90:27
	s_waitcnt lgkmcnt(0)
	v_add_co_u32 v52, s0, s8, v76
	s_delay_alu instid0(VALU_DEP_1)
	v_add_co_ci_u32_e64 v53, null, s9, v77, s0
	.loc	1 90 22                         ; layer_norm_bwd.py:90:22
	global_load_b32 v52, v[52:53], off
	s_waitcnt vmcnt(0)
	scratch_store_b32 off, v52, off offset:72 ; 4-byte Folded Spill
.LBB0_31:                               ;   in Loop: Header=BB0_3 Depth=1
	.loc	1 0 22                          ; layer_norm_bwd.py:0:22
	s_or_b32 exec_lo, exec_lo, s27
	.loc	1 89 35 is_stmt 1               ; layer_norm_bwd.py:89:35
	v_add_nc_u32_e32 v52, v178, v37
	.loc	1 87 19                         ; layer_norm_bwd.py:87:19
	v_add_nc_u32_e32 v78, 28, v176
	s_delay_alu instid0(VALU_DEP_2) | instskip(NEXT) | instid1(VALU_DEP_2)
	.loc	1 90 27                         ; layer_norm_bwd.py:90:27
	v_ashrrev_i32_e32 v53, 31, v52
	.loc	1 88 32                         ; layer_norm_bwd.py:88:32
	v_cmp_gt_i32_e64 s0, s2, v78
	s_delay_alu instid0(VALU_DEP_2) | instskip(SKIP_1) | instid1(SALU_CYCLE_1)
	v_lshlrev_b64 v[78:79], 2, v[52:53]
	.loc	1 88 38 is_stmt 0               ; layer_norm_bwd.py:88:38
	s_and_b32 s27, vcc_lo, s0
	.loc	1 90 22 is_stmt 1               ; layer_norm_bwd.py:90:22
	s_and_saveexec_b32 s28, s27
	s_cbranch_execz .LBB0_33
; %bb.32:                               ;   in Loop: Header=BB0_3 Depth=1
	.loc	1 90 27 is_stmt 0               ; layer_norm_bwd.py:90:27
	s_waitcnt lgkmcnt(0)
	s_delay_alu instid0(VALU_DEP_1) | instskip(NEXT) | instid1(VALU_DEP_1)
	v_add_co_u32 v52, s0, s8, v78
	v_add_co_ci_u32_e64 v53, null, s9, v79, s0
	.loc	1 90 22                         ; layer_norm_bwd.py:90:22
	global_load_b32 v52, v[52:53], off
	s_waitcnt vmcnt(0)
	scratch_store_b32 off, v52, off offset:68 ; 4-byte Folded Spill
.LBB0_33:                               ;   in Loop: Header=BB0_3 Depth=1
	.loc	1 0 22                          ; layer_norm_bwd.py:0:22
	s_or_b32 exec_lo, exec_lo, s28
	.loc	1 87 19 is_stmt 1               ; layer_norm_bwd.py:87:19
	v_or_b32_e32 v80, 30, v176
	v_mov_b32_e32 v54, 0
	s_delay_alu instid0(VALU_DEP_2) | instskip(SKIP_3) | instid1(VALU_DEP_1)
	.loc	1 89 35                         ; layer_norm_bwd.py:89:35
	v_mad_u64_u32 v[52:53], null, v80, s3, v[1:2]
	.loc	1 88 32                         ; layer_norm_bwd.py:88:32
	v_cmp_gt_i32_e64 s0, s2, v80
	.loc	1 88 38 is_stmt 0               ; layer_norm_bwd.py:88:38
	s_and_b32 s28, vcc_lo, s0
	.loc	1 90 27 is_stmt 1               ; layer_norm_bwd.py:90:27
	v_ashrrev_i32_e32 v53, 31, v52
	v_lshlrev_b64 v[80:81], 2, v[52:53]
	v_mov_b32_e32 v52, 0
	.loc	1 88 38                         ; layer_norm_bwd.py:88:38
	s_clause 0x1                            ; 8-byte Folded Spill
	scratch_store_b32 off, v54, off offset:76
	scratch_store_b32 off, v52, off offset:80
	.loc	1 90 22                         ; layer_norm_bwd.py:90:22
	s_and_saveexec_b32 s29, s28
	s_cbranch_execz .LBB0_35
; %bb.34:                               ;   in Loop: Header=BB0_3 Depth=1
	.loc	1 90 27 is_stmt 0               ; layer_norm_bwd.py:90:27
	s_waitcnt lgkmcnt(0)
	v_add_co_u32 v52, s0, s8, v80
	s_delay_alu instid0(VALU_DEP_1)
	v_add_co_ci_u32_e64 v53, null, s9, v81, s0
	.loc	1 90 22                         ; layer_norm_bwd.py:90:22
	global_load_b32 v52, v[52:53], off
	s_waitcnt vmcnt(0)
	scratch_store_b32 off, v52, off offset:80 ; 4-byte Folded Spill
.LBB0_35:                               ;   in Loop: Header=BB0_3 Depth=1
	.loc	1 0 22                          ; layer_norm_bwd.py:0:22
	s_or_b32 exec_lo, exec_lo, s29
	.loc	1 89 35 is_stmt 1               ; layer_norm_bwd.py:89:35
	v_add_nc_u32_e32 v52, v178, v36
	.loc	1 87 19                         ; layer_norm_bwd.py:87:19
	v_add_nc_u32_e32 v82, 32, v176
	s_delay_alu instid0(VALU_DEP_2) | instskip(NEXT) | instid1(VALU_DEP_2)
	.loc	1 90 27                         ; layer_norm_bwd.py:90:27
	v_ashrrev_i32_e32 v53, 31, v52
	.loc	1 88 32                         ; layer_norm_bwd.py:88:32
	v_cmp_gt_i32_e64 s0, s2, v82
	s_delay_alu instid0(VALU_DEP_2) | instskip(SKIP_1) | instid1(SALU_CYCLE_1)
	v_lshlrev_b64 v[82:83], 2, v[52:53]
	.loc	1 88 38 is_stmt 0               ; layer_norm_bwd.py:88:38
	s_and_b32 s29, vcc_lo, s0
	.loc	1 90 22 is_stmt 1               ; layer_norm_bwd.py:90:22
	s_and_saveexec_b32 s30, s29
	s_cbranch_execz .LBB0_37
; %bb.36:                               ;   in Loop: Header=BB0_3 Depth=1
	.loc	1 90 27 is_stmt 0               ; layer_norm_bwd.py:90:27
	s_waitcnt lgkmcnt(0)
	s_delay_alu instid0(VALU_DEP_1) | instskip(NEXT) | instid1(VALU_DEP_1)
	v_add_co_u32 v52, s0, s8, v82
	v_add_co_ci_u32_e64 v53, null, s9, v83, s0
	.loc	1 90 22                         ; layer_norm_bwd.py:90:22
	global_load_b32 v52, v[52:53], off
	s_waitcnt vmcnt(0)
	scratch_store_b32 off, v52, off offset:76 ; 4-byte Folded Spill
.LBB0_37:                               ;   in Loop: Header=BB0_3 Depth=1
	.loc	1 0 22                          ; layer_norm_bwd.py:0:22
	s_or_b32 exec_lo, exec_lo, s30
	.loc	1 89 35 is_stmt 1               ; layer_norm_bwd.py:89:35
	v_add_nc_u32_e32 v52, v178, v35
	.loc	1 87 19                         ; layer_norm_bwd.py:87:19
	v_add_nc_u32_e32 v84, 34, v176
	v_mov_b32_e32 v54, 0
	s_delay_alu instid0(VALU_DEP_3) | instskip(NEXT) | instid1(VALU_DEP_3)
	.loc	1 90 27                         ; layer_norm_bwd.py:90:27
	v_ashrrev_i32_e32 v53, 31, v52
	.loc	1 88 32                         ; layer_norm_bwd.py:88:32
	v_cmp_gt_i32_e64 s0, s2, v84
	s_delay_alu instid0(VALU_DEP_2)
	v_lshlrev_b64 v[84:85], 2, v[52:53]
	v_mov_b32_e32 v52, 0
	.loc	1 88 38 is_stmt 0               ; layer_norm_bwd.py:88:38
	s_and_b32 s30, vcc_lo, s0
	s_clause 0x1                            ; 8-byte Folded Spill
	scratch_store_b32 off, v54, off offset:84
	scratch_store_b32 off, v52, off offset:88
	.loc	1 90 22 is_stmt 1               ; layer_norm_bwd.py:90:22
	s_and_saveexec_b32 s31, s30
	s_cbranch_execz .LBB0_39
; %bb.38:                               ;   in Loop: Header=BB0_3 Depth=1
	.loc	1 90 27 is_stmt 0               ; layer_norm_bwd.py:90:27
	s_waitcnt lgkmcnt(0)
	v_add_co_u32 v52, s0, s8, v84
	s_delay_alu instid0(VALU_DEP_1)
	v_add_co_ci_u32_e64 v53, null, s9, v85, s0
	.loc	1 90 22                         ; layer_norm_bwd.py:90:22
	global_load_b32 v52, v[52:53], off
	s_waitcnt vmcnt(0)
	scratch_store_b32 off, v52, off offset:88 ; 4-byte Folded Spill
.LBB0_39:                               ;   in Loop: Header=BB0_3 Depth=1
	.loc	1 0 22                          ; layer_norm_bwd.py:0:22
	s_or_b32 exec_lo, exec_lo, s31
	.loc	1 89 35 is_stmt 1               ; layer_norm_bwd.py:89:35
	v_add_nc_u32_e32 v52, v178, v34
	.loc	1 87 19                         ; layer_norm_bwd.py:87:19
	v_add_nc_u32_e32 v86, 36, v176
	s_delay_alu instid0(VALU_DEP_2) | instskip(NEXT) | instid1(VALU_DEP_2)
	.loc	1 90 27                         ; layer_norm_bwd.py:90:27
	v_ashrrev_i32_e32 v53, 31, v52
	.loc	1 88 32                         ; layer_norm_bwd.py:88:32
	v_cmp_gt_i32_e64 s0, s2, v86
	s_delay_alu instid0(VALU_DEP_2) | instskip(SKIP_1) | instid1(SALU_CYCLE_1)
	v_lshlrev_b64 v[86:87], 2, v[52:53]
	.loc	1 88 38 is_stmt 0               ; layer_norm_bwd.py:88:38
	s_and_b32 s31, vcc_lo, s0
	.loc	1 90 22 is_stmt 1               ; layer_norm_bwd.py:90:22
	s_and_saveexec_b32 s33, s31
	s_cbranch_execz .LBB0_41
; %bb.40:                               ;   in Loop: Header=BB0_3 Depth=1
	.loc	1 90 27 is_stmt 0               ; layer_norm_bwd.py:90:27
	s_waitcnt lgkmcnt(0)
	s_delay_alu instid0(VALU_DEP_1) | instskip(NEXT) | instid1(VALU_DEP_1)
	v_add_co_u32 v52, s0, s8, v86
	v_add_co_ci_u32_e64 v53, null, s9, v87, s0
	.loc	1 90 22                         ; layer_norm_bwd.py:90:22
	global_load_b32 v52, v[52:53], off
	s_waitcnt vmcnt(0)
	scratch_store_b32 off, v52, off offset:84 ; 4-byte Folded Spill
.LBB0_41:                               ;   in Loop: Header=BB0_3 Depth=1
	.loc	1 0 22                          ; layer_norm_bwd.py:0:22
	s_or_b32 exec_lo, exec_lo, s33
	.loc	1 87 19 is_stmt 1               ; layer_norm_bwd.py:87:19
	v_or_b32_e32 v88, 38, v176
	v_mov_b32_e32 v54, 0
	s_delay_alu instid0(VALU_DEP_2) | instskip(SKIP_3) | instid1(VALU_DEP_1)
	.loc	1 89 35                         ; layer_norm_bwd.py:89:35
	v_mad_u64_u32 v[52:53], null, v88, s3, v[1:2]
	.loc	1 88 32                         ; layer_norm_bwd.py:88:32
	v_cmp_gt_i32_e64 s0, s2, v88
	.loc	1 88 38 is_stmt 0               ; layer_norm_bwd.py:88:38
	s_and_b32 s33, vcc_lo, s0
	.loc	1 90 27 is_stmt 1               ; layer_norm_bwd.py:90:27
	v_ashrrev_i32_e32 v53, 31, v52
	v_lshlrev_b64 v[88:89], 2, v[52:53]
	v_mov_b32_e32 v52, 0
	.loc	1 88 38                         ; layer_norm_bwd.py:88:38
	s_clause 0x1                            ; 8-byte Folded Spill
	scratch_store_b32 off, v54, off offset:92
	scratch_store_b32 off, v52, off offset:96
	.loc	1 90 22                         ; layer_norm_bwd.py:90:22
	s_and_saveexec_b32 s34, s33
	s_cbranch_execz .LBB0_43
; %bb.42:                               ;   in Loop: Header=BB0_3 Depth=1
	.loc	1 90 27 is_stmt 0               ; layer_norm_bwd.py:90:27
	s_waitcnt lgkmcnt(0)
	v_add_co_u32 v52, s0, s8, v88
	s_delay_alu instid0(VALU_DEP_1)
	v_add_co_ci_u32_e64 v53, null, s9, v89, s0
	.loc	1 90 22                         ; layer_norm_bwd.py:90:22
	global_load_b32 v52, v[52:53], off
	s_waitcnt vmcnt(0)
	scratch_store_b32 off, v52, off offset:96 ; 4-byte Folded Spill
.LBB0_43:                               ;   in Loop: Header=BB0_3 Depth=1
	.loc	1 0 22                          ; layer_norm_bwd.py:0:22
	s_or_b32 exec_lo, exec_lo, s34
	.loc	1 89 35 is_stmt 1               ; layer_norm_bwd.py:89:35
	v_add_nc_u32_e32 v52, v178, v33
	.loc	1 87 19                         ; layer_norm_bwd.py:87:19
	v_add_nc_u32_e32 v90, 40, v176
	s_delay_alu instid0(VALU_DEP_2) | instskip(NEXT) | instid1(VALU_DEP_2)
	.loc	1 90 27                         ; layer_norm_bwd.py:90:27
	v_ashrrev_i32_e32 v53, 31, v52
	.loc	1 88 32                         ; layer_norm_bwd.py:88:32
	v_cmp_gt_i32_e64 s0, s2, v90
	s_delay_alu instid0(VALU_DEP_2) | instskip(SKIP_1) | instid1(SALU_CYCLE_1)
	v_lshlrev_b64 v[90:91], 2, v[52:53]
	.loc	1 88 38 is_stmt 0               ; layer_norm_bwd.py:88:38
	s_and_b32 s34, vcc_lo, s0
	.loc	1 90 22 is_stmt 1               ; layer_norm_bwd.py:90:22
	s_and_saveexec_b32 s35, s34
	s_cbranch_execz .LBB0_45
; %bb.44:                               ;   in Loop: Header=BB0_3 Depth=1
	.loc	1 90 27 is_stmt 0               ; layer_norm_bwd.py:90:27
	s_waitcnt lgkmcnt(0)
	s_delay_alu instid0(VALU_DEP_1) | instskip(NEXT) | instid1(VALU_DEP_1)
	v_add_co_u32 v52, s0, s8, v90
	v_add_co_ci_u32_e64 v53, null, s9, v91, s0
	.loc	1 90 22                         ; layer_norm_bwd.py:90:22
	global_load_b32 v52, v[52:53], off
	s_waitcnt vmcnt(0)
	scratch_store_b32 off, v52, off offset:92 ; 4-byte Folded Spill
.LBB0_45:                               ;   in Loop: Header=BB0_3 Depth=1
	.loc	1 0 22                          ; layer_norm_bwd.py:0:22
	s_or_b32 exec_lo, exec_lo, s35
	v_dual_mov_b32 v13, v55 :: v_dual_add_nc_u32 v52, v178, v55
	.loc	1 87 19 is_stmt 1               ; layer_norm_bwd.py:87:19
	v_add_nc_u32_e32 v92, 42, v176
	v_mov_b32_e32 v54, 0
	s_delay_alu instid0(VALU_DEP_3) | instskip(NEXT) | instid1(VALU_DEP_3)
	.loc	1 90 27                         ; layer_norm_bwd.py:90:27
	v_ashrrev_i32_e32 v53, 31, v52
	.loc	1 88 32                         ; layer_norm_bwd.py:88:32
	v_cmp_gt_i32_e64 s0, s2, v92
	s_delay_alu instid0(VALU_DEP_2)
	v_lshlrev_b64 v[92:93], 2, v[52:53]
	v_mov_b32_e32 v52, 0
	.loc	1 88 38 is_stmt 0               ; layer_norm_bwd.py:88:38
	s_and_b32 s35, vcc_lo, s0
	.loc	1 89 35 is_stmt 1               ; layer_norm_bwd.py:89:35
	s_clause 0x2                            ; 16-byte Folded Spill
	scratch_store_b32 off, v54, off offset:100
	scratch_store_b64 off, v[13:14], off offset:464
	scratch_store_b32 off, v52, off offset:104
	.loc	1 90 22                         ; layer_norm_bwd.py:90:22
	s_and_saveexec_b32 s36, s35
	s_cbranch_execz .LBB0_47
; %bb.46:                               ;   in Loop: Header=BB0_3 Depth=1
	.loc	1 90 27 is_stmt 0               ; layer_norm_bwd.py:90:27
	s_waitcnt lgkmcnt(0)
	v_add_co_u32 v52, s0, s8, v92
	s_delay_alu instid0(VALU_DEP_1)
	v_add_co_ci_u32_e64 v53, null, s9, v93, s0
	.loc	1 90 22                         ; layer_norm_bwd.py:90:22
	global_load_b32 v52, v[52:53], off
	s_waitcnt vmcnt(0)
	scratch_store_b32 off, v52, off offset:104 ; 4-byte Folded Spill
.LBB0_47:                               ;   in Loop: Header=BB0_3 Depth=1
	.loc	1 0 22                          ; layer_norm_bwd.py:0:22
	s_or_b32 exec_lo, exec_lo, s36
	.loc	1 89 35 is_stmt 1               ; layer_norm_bwd.py:89:35
	v_add_nc_u32_e32 v52, v178, v32
	.loc	1 87 19                         ; layer_norm_bwd.py:87:19
	v_add_nc_u32_e32 v94, 44, v176
	s_delay_alu instid0(VALU_DEP_2) | instskip(NEXT) | instid1(VALU_DEP_2)
	.loc	1 90 27                         ; layer_norm_bwd.py:90:27
	v_ashrrev_i32_e32 v53, 31, v52
	.loc	1 88 32                         ; layer_norm_bwd.py:88:32
	v_cmp_gt_i32_e64 s0, s2, v94
	s_delay_alu instid0(VALU_DEP_2) | instskip(SKIP_1) | instid1(SALU_CYCLE_1)
	v_lshlrev_b64 v[94:95], 2, v[52:53]
	.loc	1 88 38 is_stmt 0               ; layer_norm_bwd.py:88:38
	s_and_b32 s36, vcc_lo, s0
	.loc	1 90 22 is_stmt 1               ; layer_norm_bwd.py:90:22
	s_and_saveexec_b32 s37, s36
	s_cbranch_execz .LBB0_49
; %bb.48:                               ;   in Loop: Header=BB0_3 Depth=1
	.loc	1 90 27 is_stmt 0               ; layer_norm_bwd.py:90:27
	s_waitcnt lgkmcnt(0)
	s_delay_alu instid0(VALU_DEP_1) | instskip(NEXT) | instid1(VALU_DEP_1)
	v_add_co_u32 v52, s0, s8, v94
	v_add_co_ci_u32_e64 v53, null, s9, v95, s0
	.loc	1 90 22                         ; layer_norm_bwd.py:90:22
	global_load_b32 v52, v[52:53], off
	s_waitcnt vmcnt(0)
	scratch_store_b32 off, v52, off offset:100 ; 4-byte Folded Spill
.LBB0_49:                               ;   in Loop: Header=BB0_3 Depth=1
	.loc	1 0 22                          ; layer_norm_bwd.py:0:22
	s_or_b32 exec_lo, exec_lo, s37
	.loc	1 87 19 is_stmt 1               ; layer_norm_bwd.py:87:19
	v_or_b32_e32 v96, 46, v176
	v_mov_b32_e32 v54, 0
	s_delay_alu instid0(VALU_DEP_2) | instskip(SKIP_3) | instid1(VALU_DEP_1)
	.loc	1 89 35                         ; layer_norm_bwd.py:89:35
	v_mad_u64_u32 v[52:53], null, v96, s3, v[1:2]
	.loc	1 88 32                         ; layer_norm_bwd.py:88:32
	v_cmp_gt_i32_e64 s0, s2, v96
	.loc	1 88 38 is_stmt 0               ; layer_norm_bwd.py:88:38
	s_and_b32 s37, vcc_lo, s0
	.loc	1 90 27 is_stmt 1               ; layer_norm_bwd.py:90:27
	v_ashrrev_i32_e32 v53, 31, v52
	v_lshlrev_b64 v[96:97], 2, v[52:53]
	v_mov_b32_e32 v52, 0
	.loc	1 88 38                         ; layer_norm_bwd.py:88:38
	s_clause 0x1                            ; 8-byte Folded Spill
	scratch_store_b32 off, v54, off offset:108
	scratch_store_b32 off, v52, off offset:112
	.loc	1 90 22                         ; layer_norm_bwd.py:90:22
	s_and_saveexec_b32 s38, s37
	s_cbranch_execz .LBB0_51
; %bb.50:                               ;   in Loop: Header=BB0_3 Depth=1
	.loc	1 90 27 is_stmt 0               ; layer_norm_bwd.py:90:27
	s_waitcnt lgkmcnt(0)
	v_add_co_u32 v52, s0, s8, v96
	s_delay_alu instid0(VALU_DEP_1)
	v_add_co_ci_u32_e64 v53, null, s9, v97, s0
	.loc	1 90 22                         ; layer_norm_bwd.py:90:22
	global_load_b32 v52, v[52:53], off
	s_waitcnt vmcnt(0)
	scratch_store_b32 off, v52, off offset:112 ; 4-byte Folded Spill
.LBB0_51:                               ;   in Loop: Header=BB0_3 Depth=1
	.loc	1 0 22                          ; layer_norm_bwd.py:0:22
	s_or_b32 exec_lo, exec_lo, s38
	.loc	1 89 35 is_stmt 1               ; layer_norm_bwd.py:89:35
	v_add_nc_u32_e32 v52, v178, v31
	.loc	1 87 19                         ; layer_norm_bwd.py:87:19
	v_add_nc_u32_e32 v98, 48, v176
	s_delay_alu instid0(VALU_DEP_2) | instskip(NEXT) | instid1(VALU_DEP_2)
	.loc	1 90 27                         ; layer_norm_bwd.py:90:27
	v_ashrrev_i32_e32 v53, 31, v52
	.loc	1 88 32                         ; layer_norm_bwd.py:88:32
	v_cmp_gt_i32_e64 s0, s2, v98
	s_delay_alu instid0(VALU_DEP_2) | instskip(SKIP_1) | instid1(SALU_CYCLE_1)
	v_lshlrev_b64 v[98:99], 2, v[52:53]
	.loc	1 88 38 is_stmt 0               ; layer_norm_bwd.py:88:38
	s_and_b32 s38, vcc_lo, s0
	.loc	1 90 22 is_stmt 1               ; layer_norm_bwd.py:90:22
	s_and_saveexec_b32 s39, s38
	s_cbranch_execz .LBB0_53
; %bb.52:                               ;   in Loop: Header=BB0_3 Depth=1
	.loc	1 90 27 is_stmt 0               ; layer_norm_bwd.py:90:27
	s_waitcnt lgkmcnt(0)
	s_delay_alu instid0(VALU_DEP_1) | instskip(NEXT) | instid1(VALU_DEP_1)
	v_add_co_u32 v52, s0, s8, v98
	v_add_co_ci_u32_e64 v53, null, s9, v99, s0
	.loc	1 90 22                         ; layer_norm_bwd.py:90:22
	global_load_b32 v52, v[52:53], off
	s_waitcnt vmcnt(0)
	scratch_store_b32 off, v52, off offset:108 ; 4-byte Folded Spill
.LBB0_53:                               ;   in Loop: Header=BB0_3 Depth=1
	.loc	1 0 22                          ; layer_norm_bwd.py:0:22
	s_or_b32 exec_lo, exec_lo, s39
	.loc	1 89 35 is_stmt 1               ; layer_norm_bwd.py:89:35
	v_add_nc_u32_e32 v52, v178, v30
	.loc	1 87 19                         ; layer_norm_bwd.py:87:19
	v_add_nc_u32_e32 v100, 50, v176
	v_mov_b32_e32 v54, 0
	s_delay_alu instid0(VALU_DEP_3) | instskip(NEXT) | instid1(VALU_DEP_3)
	.loc	1 90 27                         ; layer_norm_bwd.py:90:27
	v_ashrrev_i32_e32 v53, 31, v52
	.loc	1 88 32                         ; layer_norm_bwd.py:88:32
	v_cmp_gt_i32_e64 s0, s2, v100
	s_delay_alu instid0(VALU_DEP_2)
	v_lshlrev_b64 v[100:101], 2, v[52:53]
	v_mov_b32_e32 v52, 0
	.loc	1 88 38 is_stmt 0               ; layer_norm_bwd.py:88:38
	s_and_b32 s39, vcc_lo, s0
	s_clause 0x1                            ; 8-byte Folded Spill
	scratch_store_b32 off, v54, off offset:116
	scratch_store_b32 off, v52, off offset:120
	.loc	1 90 22 is_stmt 1               ; layer_norm_bwd.py:90:22
	s_and_saveexec_b32 s40, s39
	s_cbranch_execz .LBB0_55
; %bb.54:                               ;   in Loop: Header=BB0_3 Depth=1
	.loc	1 90 27 is_stmt 0               ; layer_norm_bwd.py:90:27
	s_waitcnt lgkmcnt(0)
	v_add_co_u32 v52, s0, s8, v100
	s_delay_alu instid0(VALU_DEP_1)
	v_add_co_ci_u32_e64 v53, null, s9, v101, s0
	.loc	1 90 22                         ; layer_norm_bwd.py:90:22
	global_load_b32 v52, v[52:53], off
	s_waitcnt vmcnt(0)
	scratch_store_b32 off, v52, off offset:120 ; 4-byte Folded Spill
.LBB0_55:                               ;   in Loop: Header=BB0_3 Depth=1
	.loc	1 0 22                          ; layer_norm_bwd.py:0:22
	s_or_b32 exec_lo, exec_lo, s40
	.loc	1 89 35 is_stmt 1               ; layer_norm_bwd.py:89:35
	v_add_nc_u32_e32 v52, v178, v29
	.loc	1 87 19                         ; layer_norm_bwd.py:87:19
	v_add_nc_u32_e32 v102, 52, v176
	s_delay_alu instid0(VALU_DEP_2) | instskip(NEXT) | instid1(VALU_DEP_2)
	.loc	1 90 27                         ; layer_norm_bwd.py:90:27
	v_ashrrev_i32_e32 v53, 31, v52
	.loc	1 88 32                         ; layer_norm_bwd.py:88:32
	v_cmp_gt_i32_e64 s0, s2, v102
	s_delay_alu instid0(VALU_DEP_2) | instskip(SKIP_1) | instid1(SALU_CYCLE_1)
	v_lshlrev_b64 v[102:103], 2, v[52:53]
	.loc	1 88 38 is_stmt 0               ; layer_norm_bwd.py:88:38
	s_and_b32 s40, vcc_lo, s0
	.loc	1 90 22 is_stmt 1               ; layer_norm_bwd.py:90:22
	s_and_saveexec_b32 s41, s40
	s_cbranch_execz .LBB0_57
; %bb.56:                               ;   in Loop: Header=BB0_3 Depth=1
	.loc	1 90 27 is_stmt 0               ; layer_norm_bwd.py:90:27
	s_waitcnt lgkmcnt(0)
	s_delay_alu instid0(VALU_DEP_1) | instskip(NEXT) | instid1(VALU_DEP_1)
	v_add_co_u32 v52, s0, s8, v102
	v_add_co_ci_u32_e64 v53, null, s9, v103, s0
	.loc	1 90 22                         ; layer_norm_bwd.py:90:22
	global_load_b32 v52, v[52:53], off
	s_waitcnt vmcnt(0)
	scratch_store_b32 off, v52, off offset:116 ; 4-byte Folded Spill
.LBB0_57:                               ;   in Loop: Header=BB0_3 Depth=1
	.loc	1 0 22                          ; layer_norm_bwd.py:0:22
	s_or_b32 exec_lo, exec_lo, s41
	.loc	1 87 19 is_stmt 1               ; layer_norm_bwd.py:87:19
	v_or_b32_e32 v104, 54, v176
	v_mov_b32_e32 v54, 0
	s_delay_alu instid0(VALU_DEP_2) | instskip(SKIP_3) | instid1(VALU_DEP_1)
	.loc	1 89 35                         ; layer_norm_bwd.py:89:35
	v_mad_u64_u32 v[52:53], null, v104, s3, v[1:2]
	.loc	1 88 32                         ; layer_norm_bwd.py:88:32
	v_cmp_gt_i32_e64 s0, s2, v104
	.loc	1 88 38 is_stmt 0               ; layer_norm_bwd.py:88:38
	s_and_b32 s41, vcc_lo, s0
	.loc	1 90 27 is_stmt 1               ; layer_norm_bwd.py:90:27
	v_ashrrev_i32_e32 v53, 31, v52
	v_lshlrev_b64 v[104:105], 2, v[52:53]
	v_mov_b32_e32 v52, 0
	.loc	1 88 38                         ; layer_norm_bwd.py:88:38
	s_clause 0x1                            ; 8-byte Folded Spill
	scratch_store_b32 off, v54, off offset:124
	scratch_store_b32 off, v52, off offset:128
	.loc	1 90 22                         ; layer_norm_bwd.py:90:22
	s_and_saveexec_b32 s42, s41
	s_cbranch_execz .LBB0_59
; %bb.58:                               ;   in Loop: Header=BB0_3 Depth=1
	.loc	1 90 27 is_stmt 0               ; layer_norm_bwd.py:90:27
	s_waitcnt lgkmcnt(0)
	v_add_co_u32 v52, s0, s8, v104
	s_delay_alu instid0(VALU_DEP_1)
	v_add_co_ci_u32_e64 v53, null, s9, v105, s0
	.loc	1 90 22                         ; layer_norm_bwd.py:90:22
	global_load_b32 v52, v[52:53], off
	s_waitcnt vmcnt(0)
	scratch_store_b32 off, v52, off offset:128 ; 4-byte Folded Spill
.LBB0_59:                               ;   in Loop: Header=BB0_3 Depth=1
	.loc	1 0 22                          ; layer_norm_bwd.py:0:22
	s_or_b32 exec_lo, exec_lo, s42
	.loc	1 89 35 is_stmt 1               ; layer_norm_bwd.py:89:35
	v_add_nc_u32_e32 v52, v178, v28
	.loc	1 87 19                         ; layer_norm_bwd.py:87:19
	v_add_nc_u32_e32 v106, 56, v176
	s_delay_alu instid0(VALU_DEP_2) | instskip(NEXT) | instid1(VALU_DEP_2)
	.loc	1 90 27                         ; layer_norm_bwd.py:90:27
	v_ashrrev_i32_e32 v53, 31, v52
	.loc	1 88 32                         ; layer_norm_bwd.py:88:32
	v_cmp_gt_i32_e64 s0, s2, v106
	s_delay_alu instid0(VALU_DEP_2) | instskip(SKIP_1) | instid1(SALU_CYCLE_1)
	v_lshlrev_b64 v[106:107], 2, v[52:53]
	.loc	1 88 38 is_stmt 0               ; layer_norm_bwd.py:88:38
	s_and_b32 s42, vcc_lo, s0
	.loc	1 90 22 is_stmt 1               ; layer_norm_bwd.py:90:22
	s_and_saveexec_b32 s43, s42
	s_cbranch_execz .LBB0_61
; %bb.60:                               ;   in Loop: Header=BB0_3 Depth=1
	.loc	1 90 27 is_stmt 0               ; layer_norm_bwd.py:90:27
	s_waitcnt lgkmcnt(0)
	s_delay_alu instid0(VALU_DEP_1) | instskip(NEXT) | instid1(VALU_DEP_1)
	v_add_co_u32 v52, s0, s8, v106
	v_add_co_ci_u32_e64 v53, null, s9, v107, s0
	.loc	1 90 22                         ; layer_norm_bwd.py:90:22
	global_load_b32 v52, v[52:53], off
	s_waitcnt vmcnt(0)
	scratch_store_b32 off, v52, off offset:124 ; 4-byte Folded Spill
.LBB0_61:                               ;   in Loop: Header=BB0_3 Depth=1
	.loc	1 0 22                          ; layer_norm_bwd.py:0:22
	s_or_b32 exec_lo, exec_lo, s43
	.loc	1 89 35 is_stmt 1               ; layer_norm_bwd.py:89:35
	v_add_nc_u32_e32 v52, v178, v25
	.loc	1 87 19                         ; layer_norm_bwd.py:87:19
	v_add_nc_u32_e32 v108, 58, v176
	v_mov_b32_e32 v54, 0
	s_delay_alu instid0(VALU_DEP_3) | instskip(NEXT) | instid1(VALU_DEP_3)
	.loc	1 90 27                         ; layer_norm_bwd.py:90:27
	v_ashrrev_i32_e32 v53, 31, v52
	.loc	1 88 32                         ; layer_norm_bwd.py:88:32
	v_cmp_gt_i32_e64 s0, s2, v108
	s_delay_alu instid0(VALU_DEP_2)
	v_lshlrev_b64 v[108:109], 2, v[52:53]
	v_mov_b32_e32 v52, 0
	.loc	1 88 38 is_stmt 0               ; layer_norm_bwd.py:88:38
	s_and_b32 s43, vcc_lo, s0
	s_clause 0x1                            ; 8-byte Folded Spill
	scratch_store_b32 off, v54, off offset:132
	scratch_store_b32 off, v52, off offset:136
	.loc	1 90 22 is_stmt 1               ; layer_norm_bwd.py:90:22
	s_and_saveexec_b32 s44, s43
	s_cbranch_execz .LBB0_63
; %bb.62:                               ;   in Loop: Header=BB0_3 Depth=1
	.loc	1 90 27 is_stmt 0               ; layer_norm_bwd.py:90:27
	s_waitcnt lgkmcnt(0)
	v_add_co_u32 v52, s0, s8, v108
	s_delay_alu instid0(VALU_DEP_1)
	v_add_co_ci_u32_e64 v53, null, s9, v109, s0
	.loc	1 90 22                         ; layer_norm_bwd.py:90:22
	global_load_b32 v52, v[52:53], off
	s_waitcnt vmcnt(0)
	scratch_store_b32 off, v52, off offset:136 ; 4-byte Folded Spill
.LBB0_63:                               ;   in Loop: Header=BB0_3 Depth=1
	.loc	1 0 22                          ; layer_norm_bwd.py:0:22
	s_or_b32 exec_lo, exec_lo, s44
	.loc	1 89 35 is_stmt 1               ; layer_norm_bwd.py:89:35
	v_add_nc_u32_e32 v52, v178, v27
	.loc	1 87 19                         ; layer_norm_bwd.py:87:19
	v_add_nc_u32_e32 v110, 60, v176
	s_delay_alu instid0(VALU_DEP_2) | instskip(NEXT) | instid1(VALU_DEP_2)
	.loc	1 90 27                         ; layer_norm_bwd.py:90:27
	v_ashrrev_i32_e32 v53, 31, v52
	.loc	1 88 32                         ; layer_norm_bwd.py:88:32
	v_cmp_gt_i32_e64 s0, s2, v110
	s_delay_alu instid0(VALU_DEP_2) | instskip(SKIP_1) | instid1(SALU_CYCLE_1)
	v_lshlrev_b64 v[110:111], 2, v[52:53]
	.loc	1 88 38 is_stmt 0               ; layer_norm_bwd.py:88:38
	s_and_b32 s44, vcc_lo, s0
	.loc	1 90 22 is_stmt 1               ; layer_norm_bwd.py:90:22
	s_and_saveexec_b32 s45, s44
	s_cbranch_execz .LBB0_65
; %bb.64:                               ;   in Loop: Header=BB0_3 Depth=1
	.loc	1 90 27 is_stmt 0               ; layer_norm_bwd.py:90:27
	s_waitcnt lgkmcnt(0)
	s_delay_alu instid0(VALU_DEP_1) | instskip(NEXT) | instid1(VALU_DEP_1)
	v_add_co_u32 v52, s0, s8, v110
	v_add_co_ci_u32_e64 v53, null, s9, v111, s0
	.loc	1 90 22                         ; layer_norm_bwd.py:90:22
	global_load_b32 v52, v[52:53], off
	s_waitcnt vmcnt(0)
	scratch_store_b32 off, v52, off offset:132 ; 4-byte Folded Spill
.LBB0_65:                               ;   in Loop: Header=BB0_3 Depth=1
	.loc	1 0 22                          ; layer_norm_bwd.py:0:22
	s_or_b32 exec_lo, exec_lo, s45
	.loc	1 87 19 is_stmt 1               ; layer_norm_bwd.py:87:19
	v_or_b32_e32 v112, 62, v176
	v_mov_b32_e32 v54, 0
	s_delay_alu instid0(VALU_DEP_2) | instskip(SKIP_3) | instid1(VALU_DEP_1)
	.loc	1 89 35                         ; layer_norm_bwd.py:89:35
	v_mad_u64_u32 v[52:53], null, v112, s3, v[1:2]
	.loc	1 88 32                         ; layer_norm_bwd.py:88:32
	v_cmp_gt_i32_e64 s0, s2, v112
	.loc	1 88 38 is_stmt 0               ; layer_norm_bwd.py:88:38
	s_and_b32 s45, vcc_lo, s0
	.loc	1 90 27 is_stmt 1               ; layer_norm_bwd.py:90:27
	v_ashrrev_i32_e32 v53, 31, v52
	v_lshlrev_b64 v[112:113], 2, v[52:53]
	v_mov_b32_e32 v52, 0
	.loc	1 88 38                         ; layer_norm_bwd.py:88:38
	s_clause 0x1                            ; 8-byte Folded Spill
	scratch_store_b32 off, v54, off offset:140
	scratch_store_b32 off, v52, off offset:144
	.loc	1 90 22                         ; layer_norm_bwd.py:90:22
	s_and_saveexec_b32 s46, s45
	s_cbranch_execz .LBB0_67
; %bb.66:                               ;   in Loop: Header=BB0_3 Depth=1
	.loc	1 90 27 is_stmt 0               ; layer_norm_bwd.py:90:27
	s_waitcnt lgkmcnt(0)
	v_add_co_u32 v52, s0, s8, v112
	s_delay_alu instid0(VALU_DEP_1)
	v_add_co_ci_u32_e64 v53, null, s9, v113, s0
	.loc	1 90 22                         ; layer_norm_bwd.py:90:22
	global_load_b32 v52, v[52:53], off
	s_waitcnt vmcnt(0)
	scratch_store_b32 off, v52, off offset:144 ; 4-byte Folded Spill
.LBB0_67:                               ;   in Loop: Header=BB0_3 Depth=1
	.loc	1 0 22                          ; layer_norm_bwd.py:0:22
	s_or_b32 exec_lo, exec_lo, s46
	.loc	1 89 35 is_stmt 1               ; layer_norm_bwd.py:89:35
	v_add_nc_u32_e32 v52, v178, v24
	.loc	1 87 19                         ; layer_norm_bwd.py:87:19
	v_add_nc_u32_e32 v114, 64, v176
	s_delay_alu instid0(VALU_DEP_2) | instskip(NEXT) | instid1(VALU_DEP_2)
	.loc	1 90 27                         ; layer_norm_bwd.py:90:27
	v_ashrrev_i32_e32 v53, 31, v52
	.loc	1 88 32                         ; layer_norm_bwd.py:88:32
	v_cmp_gt_i32_e64 s0, s2, v114
	s_delay_alu instid0(VALU_DEP_2) | instskip(SKIP_1) | instid1(SALU_CYCLE_1)
	v_lshlrev_b64 v[114:115], 2, v[52:53]
	.loc	1 88 38 is_stmt 0               ; layer_norm_bwd.py:88:38
	s_and_b32 s46, vcc_lo, s0
	.loc	1 90 22 is_stmt 1               ; layer_norm_bwd.py:90:22
	s_and_saveexec_b32 s47, s46
	s_cbranch_execz .LBB0_69
; %bb.68:                               ;   in Loop: Header=BB0_3 Depth=1
	.loc	1 90 27 is_stmt 0               ; layer_norm_bwd.py:90:27
	s_waitcnt lgkmcnt(0)
	s_delay_alu instid0(VALU_DEP_1) | instskip(NEXT) | instid1(VALU_DEP_1)
	v_add_co_u32 v52, s0, s8, v114
	v_add_co_ci_u32_e64 v53, null, s9, v115, s0
	.loc	1 90 22                         ; layer_norm_bwd.py:90:22
	global_load_b32 v52, v[52:53], off
	s_waitcnt vmcnt(0)
	scratch_store_b32 off, v52, off offset:140 ; 4-byte Folded Spill
.LBB0_69:                               ;   in Loop: Header=BB0_3 Depth=1
	.loc	1 0 22                          ; layer_norm_bwd.py:0:22
	s_or_b32 exec_lo, exec_lo, s47
	.loc	1 89 35 is_stmt 1               ; layer_norm_bwd.py:89:35
	v_add_nc_u32_e32 v52, v178, v23
	.loc	1 87 19                         ; layer_norm_bwd.py:87:19
	v_add_nc_u32_e32 v116, 0x42, v176
	v_mov_b32_e32 v54, 0
	s_delay_alu instid0(VALU_DEP_3) | instskip(NEXT) | instid1(VALU_DEP_3)
	.loc	1 90 27                         ; layer_norm_bwd.py:90:27
	v_ashrrev_i32_e32 v53, 31, v52
	.loc	1 88 32                         ; layer_norm_bwd.py:88:32
	v_cmp_gt_i32_e64 s0, s2, v116
	s_delay_alu instid0(VALU_DEP_2)
	v_lshlrev_b64 v[116:117], 2, v[52:53]
	v_mov_b32_e32 v52, 0
	.loc	1 88 38 is_stmt 0               ; layer_norm_bwd.py:88:38
	s_and_b32 s47, vcc_lo, s0
	s_clause 0x1                            ; 8-byte Folded Spill
	scratch_store_b32 off, v54, off offset:148
	scratch_store_b32 off, v52, off offset:152
	.loc	1 90 22 is_stmt 1               ; layer_norm_bwd.py:90:22
	s_and_saveexec_b32 s48, s47
	s_cbranch_execz .LBB0_71
; %bb.70:                               ;   in Loop: Header=BB0_3 Depth=1
	.loc	1 90 27 is_stmt 0               ; layer_norm_bwd.py:90:27
	s_waitcnt lgkmcnt(0)
	v_add_co_u32 v52, s0, s8, v116
	s_delay_alu instid0(VALU_DEP_1)
	v_add_co_ci_u32_e64 v53, null, s9, v117, s0
	.loc	1 90 22                         ; layer_norm_bwd.py:90:22
	global_load_b32 v52, v[52:53], off
	s_waitcnt vmcnt(0)
	scratch_store_b32 off, v52, off offset:152 ; 4-byte Folded Spill
.LBB0_71:                               ;   in Loop: Header=BB0_3 Depth=1
	.loc	1 0 22                          ; layer_norm_bwd.py:0:22
	s_or_b32 exec_lo, exec_lo, s48
	.loc	1 89 35 is_stmt 1               ; layer_norm_bwd.py:89:35
	v_add_nc_u32_e32 v52, v178, v22
	.loc	1 87 19                         ; layer_norm_bwd.py:87:19
	v_add_nc_u32_e32 v118, 0x44, v176
	s_delay_alu instid0(VALU_DEP_2) | instskip(NEXT) | instid1(VALU_DEP_2)
	.loc	1 90 27                         ; layer_norm_bwd.py:90:27
	v_ashrrev_i32_e32 v53, 31, v52
	.loc	1 88 32                         ; layer_norm_bwd.py:88:32
	v_cmp_gt_i32_e64 s0, s2, v118
	s_delay_alu instid0(VALU_DEP_2)
	v_lshlrev_b64 v[44:45], 2, v[52:53]
	.loc	1 88 38 is_stmt 0               ; layer_norm_bwd.py:88:38
	s_and_b32 s48, vcc_lo, s0
	scratch_store_b64 off, v[44:45], off offset:480 ; 8-byte Folded Spill
	.loc	1 90 22 is_stmt 1               ; layer_norm_bwd.py:90:22
	s_and_saveexec_b32 s49, s48
	s_cbranch_execz .LBB0_73
; %bb.72:                               ;   in Loop: Header=BB0_3 Depth=1
	.loc	1 0 22 is_stmt 0                ; layer_norm_bwd.py:0:22
	scratch_load_b64 v[44:45], off, off offset:480 ; 8-byte Folded Reload
	.loc	1 90 27                         ; layer_norm_bwd.py:90:27
	s_waitcnt vmcnt(0) lgkmcnt(0)
	v_add_co_u32 v52, s0, s8, v44
	s_delay_alu instid0(VALU_DEP_1)
	v_add_co_ci_u32_e64 v53, null, s9, v45, s0
	.loc	1 90 22                         ; layer_norm_bwd.py:90:22
	global_load_b32 v52, v[52:53], off
	s_waitcnt vmcnt(0)
	scratch_store_b32 off, v52, off offset:148 ; 4-byte Folded Spill
.LBB0_73:                               ;   in Loop: Header=BB0_3 Depth=1
	.loc	1 0 22                          ; layer_norm_bwd.py:0:22
	s_or_b32 exec_lo, exec_lo, s49
	.loc	1 87 19 is_stmt 1               ; layer_norm_bwd.py:87:19
	v_or_b32_e32 v120, 0x46, v176
	v_mov_b32_e32 v54, 0
	s_delay_alu instid0(VALU_DEP_2) | instskip(SKIP_3) | instid1(VALU_DEP_1)
	.loc	1 89 35                         ; layer_norm_bwd.py:89:35
	v_mad_u64_u32 v[52:53], null, v120, s3, v[1:2]
	.loc	1 88 32                         ; layer_norm_bwd.py:88:32
	v_cmp_gt_i32_e64 s0, s2, v120
	.loc	1 88 38 is_stmt 0               ; layer_norm_bwd.py:88:38
	s_and_b32 s49, vcc_lo, s0
	.loc	1 90 27 is_stmt 1               ; layer_norm_bwd.py:90:27
	v_ashrrev_i32_e32 v53, 31, v52
	v_lshlrev_b64 v[120:121], 2, v[52:53]
	v_mov_b32_e32 v52, 0
	.loc	1 88 38                         ; layer_norm_bwd.py:88:38
	s_clause 0x1                            ; 8-byte Folded Spill
	scratch_store_b32 off, v54, off offset:156
	scratch_store_b32 off, v52, off offset:160
	.loc	1 90 22                         ; layer_norm_bwd.py:90:22
	s_and_saveexec_b32 s50, s49
	s_cbranch_execz .LBB0_75
; %bb.74:                               ;   in Loop: Header=BB0_3 Depth=1
	.loc	1 90 27 is_stmt 0               ; layer_norm_bwd.py:90:27
	s_waitcnt lgkmcnt(0)
	v_add_co_u32 v52, s0, s8, v120
	s_delay_alu instid0(VALU_DEP_1)
	v_add_co_ci_u32_e64 v53, null, s9, v121, s0
	.loc	1 90 22                         ; layer_norm_bwd.py:90:22
	global_load_b32 v52, v[52:53], off
	s_waitcnt vmcnt(0)
	scratch_store_b32 off, v52, off offset:160 ; 4-byte Folded Spill
.LBB0_75:                               ;   in Loop: Header=BB0_3 Depth=1
	.loc	1 0 22                          ; layer_norm_bwd.py:0:22
	s_or_b32 exec_lo, exec_lo, s50
	.loc	1 89 35 is_stmt 1               ; layer_norm_bwd.py:89:35
	v_add_nc_u32_e32 v52, v178, v21
	.loc	1 87 19                         ; layer_norm_bwd.py:87:19
	v_add_nc_u32_e32 v122, 0x48, v176
	s_delay_alu instid0(VALU_DEP_2) | instskip(NEXT) | instid1(VALU_DEP_2)
	.loc	1 90 27                         ; layer_norm_bwd.py:90:27
	v_ashrrev_i32_e32 v53, 31, v52
	.loc	1 88 32                         ; layer_norm_bwd.py:88:32
	v_cmp_gt_i32_e64 s0, s2, v122
	s_delay_alu instid0(VALU_DEP_2) | instskip(SKIP_1) | instid1(SALU_CYCLE_1)
	v_lshlrev_b64 v[122:123], 2, v[52:53]
	.loc	1 88 38 is_stmt 0               ; layer_norm_bwd.py:88:38
	s_and_b32 s50, vcc_lo, s0
	.loc	1 90 22 is_stmt 1               ; layer_norm_bwd.py:90:22
	s_and_saveexec_b32 s51, s50
	s_cbranch_execz .LBB0_77
; %bb.76:                               ;   in Loop: Header=BB0_3 Depth=1
	.loc	1 90 27 is_stmt 0               ; layer_norm_bwd.py:90:27
	s_waitcnt lgkmcnt(0)
	s_delay_alu instid0(VALU_DEP_1) | instskip(NEXT) | instid1(VALU_DEP_1)
	v_add_co_u32 v52, s0, s8, v122
	v_add_co_ci_u32_e64 v53, null, s9, v123, s0
	.loc	1 90 22                         ; layer_norm_bwd.py:90:22
	global_load_b32 v52, v[52:53], off
	s_waitcnt vmcnt(0)
	scratch_store_b32 off, v52, off offset:156 ; 4-byte Folded Spill
.LBB0_77:                               ;   in Loop: Header=BB0_3 Depth=1
	.loc	1 0 22                          ; layer_norm_bwd.py:0:22
	s_or_b32 exec_lo, exec_lo, s51
	.loc	1 89 35 is_stmt 1               ; layer_norm_bwd.py:89:35
	scratch_load_b64 v[52:53], off, off offset:8 ; 8-byte Folded Reload
	.loc	1 87 19                         ; layer_norm_bwd.py:87:19
	v_add_nc_u32_e32 v124, 0x4a, v176
	v_mov_b32_e32 v54, 0
	s_delay_alu instid0(VALU_DEP_2) | instskip(SKIP_3) | instid1(VALU_DEP_1)
	.loc	1 88 32                         ; layer_norm_bwd.py:88:32
	v_cmp_gt_i32_e64 s0, s2, v124
	.loc	1 88 38 is_stmt 0               ; layer_norm_bwd.py:88:38
	s_and_b32 s51, vcc_lo, s0
	.loc	1 89 35 is_stmt 1               ; layer_norm_bwd.py:89:35
	s_waitcnt vmcnt(0)
	v_add_nc_u32_e32 v52, v178, v52
	.loc	1 90 27                         ; layer_norm_bwd.py:90:27
	v_ashrrev_i32_e32 v53, 31, v52
	s_delay_alu instid0(VALU_DEP_1)
	v_lshlrev_b64 v[124:125], 2, v[52:53]
	v_mov_b32_e32 v52, 0
	.loc	1 88 38                         ; layer_norm_bwd.py:88:38
	s_clause 0x1                            ; 8-byte Folded Spill
	scratch_store_b32 off, v54, off offset:164
	scratch_store_b32 off, v52, off offset:168
	.loc	1 90 22                         ; layer_norm_bwd.py:90:22
	s_and_saveexec_b32 s52, s51
	s_cbranch_execz .LBB0_79
; %bb.78:                               ;   in Loop: Header=BB0_3 Depth=1
	.loc	1 90 27 is_stmt 0               ; layer_norm_bwd.py:90:27
	s_waitcnt lgkmcnt(0)
	v_add_co_u32 v52, s0, s8, v124
	s_delay_alu instid0(VALU_DEP_1)
	v_add_co_ci_u32_e64 v53, null, s9, v125, s0
	.loc	1 90 22                         ; layer_norm_bwd.py:90:22
	global_load_b32 v52, v[52:53], off
	s_waitcnt vmcnt(0)
	scratch_store_b32 off, v52, off offset:168 ; 4-byte Folded Spill
.LBB0_79:                               ;   in Loop: Header=BB0_3 Depth=1
	.loc	1 0 22                          ; layer_norm_bwd.py:0:22
	s_or_b32 exec_lo, exec_lo, s52
	.loc	1 89 35 is_stmt 1               ; layer_norm_bwd.py:89:35
	v_add_nc_u32_e32 v52, v178, v20
	.loc	1 87 19                         ; layer_norm_bwd.py:87:19
	v_add_nc_u32_e32 v126, 0x4c, v176
	s_delay_alu instid0(VALU_DEP_2) | instskip(NEXT) | instid1(VALU_DEP_2)
	.loc	1 90 27                         ; layer_norm_bwd.py:90:27
	v_ashrrev_i32_e32 v53, 31, v52
	.loc	1 88 32                         ; layer_norm_bwd.py:88:32
	v_cmp_gt_i32_e64 s0, s2, v126
	s_delay_alu instid0(VALU_DEP_2) | instskip(SKIP_1) | instid1(SALU_CYCLE_1)
	v_lshlrev_b64 v[126:127], 2, v[52:53]
	.loc	1 88 38 is_stmt 0               ; layer_norm_bwd.py:88:38
	s_and_b32 s52, vcc_lo, s0
	.loc	1 90 22 is_stmt 1               ; layer_norm_bwd.py:90:22
	s_and_saveexec_b32 s53, s52
	s_cbranch_execz .LBB0_81
; %bb.80:                               ;   in Loop: Header=BB0_3 Depth=1
	.loc	1 90 27 is_stmt 0               ; layer_norm_bwd.py:90:27
	s_waitcnt lgkmcnt(0)
	s_delay_alu instid0(VALU_DEP_1) | instskip(NEXT) | instid1(VALU_DEP_1)
	v_add_co_u32 v52, s0, s8, v126
	v_add_co_ci_u32_e64 v53, null, s9, v127, s0
	.loc	1 90 22                         ; layer_norm_bwd.py:90:22
	global_load_b32 v52, v[52:53], off
	s_waitcnt vmcnt(0)
	scratch_store_b32 off, v52, off offset:164 ; 4-byte Folded Spill
.LBB0_81:                               ;   in Loop: Header=BB0_3 Depth=1
	.loc	1 0 22                          ; layer_norm_bwd.py:0:22
	s_or_b32 exec_lo, exec_lo, s53
	.loc	1 87 19 is_stmt 1               ; layer_norm_bwd.py:87:19
	v_or_b32_e32 v128, 0x4e, v176
	v_mov_b32_e32 v54, 0
	s_delay_alu instid0(VALU_DEP_2) | instskip(SKIP_3) | instid1(VALU_DEP_1)
	.loc	1 89 35                         ; layer_norm_bwd.py:89:35
	v_mad_u64_u32 v[52:53], null, v128, s3, v[1:2]
	.loc	1 88 32                         ; layer_norm_bwd.py:88:32
	v_cmp_gt_i32_e64 s0, s2, v128
	.loc	1 88 38 is_stmt 0               ; layer_norm_bwd.py:88:38
	s_and_b32 s53, vcc_lo, s0
	.loc	1 90 27 is_stmt 1               ; layer_norm_bwd.py:90:27
	v_ashrrev_i32_e32 v53, 31, v52
	v_lshlrev_b64 v[128:129], 2, v[52:53]
	v_mov_b32_e32 v52, 0
	.loc	1 88 38                         ; layer_norm_bwd.py:88:38
	s_clause 0x1                            ; 8-byte Folded Spill
	scratch_store_b32 off, v54, off offset:172
	scratch_store_b32 off, v52, off offset:176
	.loc	1 90 22                         ; layer_norm_bwd.py:90:22
	s_and_saveexec_b32 s54, s53
	s_cbranch_execz .LBB0_83
; %bb.82:                               ;   in Loop: Header=BB0_3 Depth=1
	.loc	1 90 27 is_stmt 0               ; layer_norm_bwd.py:90:27
	s_waitcnt lgkmcnt(0)
	v_add_co_u32 v52, s0, s8, v128
	s_delay_alu instid0(VALU_DEP_1)
	v_add_co_ci_u32_e64 v53, null, s9, v129, s0
	.loc	1 90 22                         ; layer_norm_bwd.py:90:22
	global_load_b32 v52, v[52:53], off
	s_waitcnt vmcnt(0)
	scratch_store_b32 off, v52, off offset:176 ; 4-byte Folded Spill
.LBB0_83:                               ;   in Loop: Header=BB0_3 Depth=1
	.loc	1 0 22                          ; layer_norm_bwd.py:0:22
	s_or_b32 exec_lo, exec_lo, s54
	.loc	1 89 35 is_stmt 1               ; layer_norm_bwd.py:89:35
	v_add_nc_u32_e32 v52, v178, v19
	.loc	1 87 19                         ; layer_norm_bwd.py:87:19
	v_add_nc_u32_e32 v130, 0x50, v176
	s_delay_alu instid0(VALU_DEP_2) | instskip(NEXT) | instid1(VALU_DEP_2)
	.loc	1 90 27                         ; layer_norm_bwd.py:90:27
	v_ashrrev_i32_e32 v53, 31, v52
	.loc	1 88 32                         ; layer_norm_bwd.py:88:32
	v_cmp_gt_i32_e64 s0, s2, v130
	s_delay_alu instid0(VALU_DEP_2) | instskip(SKIP_1) | instid1(SALU_CYCLE_1)
	v_lshlrev_b64 v[130:131], 2, v[52:53]
	.loc	1 88 38 is_stmt 0               ; layer_norm_bwd.py:88:38
	s_and_b32 s54, vcc_lo, s0
	.loc	1 90 22 is_stmt 1               ; layer_norm_bwd.py:90:22
	s_and_saveexec_b32 s55, s54
	s_cbranch_execz .LBB0_85
; %bb.84:                               ;   in Loop: Header=BB0_3 Depth=1
	.loc	1 90 27 is_stmt 0               ; layer_norm_bwd.py:90:27
	s_waitcnt lgkmcnt(0)
	s_delay_alu instid0(VALU_DEP_1) | instskip(NEXT) | instid1(VALU_DEP_1)
	v_add_co_u32 v52, s0, s8, v130
	v_add_co_ci_u32_e64 v53, null, s9, v131, s0
	.loc	1 90 22                         ; layer_norm_bwd.py:90:22
	global_load_b32 v52, v[52:53], off
	s_waitcnt vmcnt(0)
	scratch_store_b32 off, v52, off offset:172 ; 4-byte Folded Spill
.LBB0_85:                               ;   in Loop: Header=BB0_3 Depth=1
	.loc	1 0 22                          ; layer_norm_bwd.py:0:22
	s_or_b32 exec_lo, exec_lo, s55
	.loc	1 89 35 is_stmt 1               ; layer_norm_bwd.py:89:35
	v_add_nc_u32_e32 v52, v178, v18
	.loc	1 87 19                         ; layer_norm_bwd.py:87:19
	v_add_nc_u32_e32 v132, 0x52, v176
	v_mov_b32_e32 v54, 0
	s_delay_alu instid0(VALU_DEP_3) | instskip(NEXT) | instid1(VALU_DEP_3)
	.loc	1 90 27                         ; layer_norm_bwd.py:90:27
	v_ashrrev_i32_e32 v53, 31, v52
	.loc	1 88 32                         ; layer_norm_bwd.py:88:32
	v_cmp_gt_i32_e64 s0, s2, v132
	s_delay_alu instid0(VALU_DEP_2)
	v_lshlrev_b64 v[132:133], 2, v[52:53]
	v_mov_b32_e32 v52, 0
	.loc	1 88 38 is_stmt 0               ; layer_norm_bwd.py:88:38
	s_and_b32 s55, vcc_lo, s0
	s_clause 0x1                            ; 8-byte Folded Spill
	scratch_store_b32 off, v54, off offset:180
	scratch_store_b32 off, v52, off offset:184
	.loc	1 90 22 is_stmt 1               ; layer_norm_bwd.py:90:22
	s_and_saveexec_b32 s56, s55
	s_cbranch_execz .LBB0_87
; %bb.86:                               ;   in Loop: Header=BB0_3 Depth=1
	.loc	1 90 27 is_stmt 0               ; layer_norm_bwd.py:90:27
	s_waitcnt lgkmcnt(0)
	v_add_co_u32 v52, s0, s8, v132
	s_delay_alu instid0(VALU_DEP_1)
	v_add_co_ci_u32_e64 v53, null, s9, v133, s0
	.loc	1 90 22                         ; layer_norm_bwd.py:90:22
	global_load_b32 v52, v[52:53], off
	s_waitcnt vmcnt(0)
	scratch_store_b32 off, v52, off offset:184 ; 4-byte Folded Spill
.LBB0_87:                               ;   in Loop: Header=BB0_3 Depth=1
	.loc	1 0 22                          ; layer_norm_bwd.py:0:22
	s_or_b32 exec_lo, exec_lo, s56
	.loc	1 89 35 is_stmt 1               ; layer_norm_bwd.py:89:35
	v_add_nc_u32_e32 v52, v178, v17
	.loc	1 87 19                         ; layer_norm_bwd.py:87:19
	v_add_nc_u32_e32 v134, 0x54, v176
	s_delay_alu instid0(VALU_DEP_2) | instskip(NEXT) | instid1(VALU_DEP_2)
	.loc	1 90 27                         ; layer_norm_bwd.py:90:27
	v_ashrrev_i32_e32 v53, 31, v52
	.loc	1 88 32                         ; layer_norm_bwd.py:88:32
	v_cmp_gt_i32_e64 s0, s2, v134
	s_delay_alu instid0(VALU_DEP_2) | instskip(SKIP_1) | instid1(SALU_CYCLE_1)
	v_lshlrev_b64 v[134:135], 2, v[52:53]
	.loc	1 88 38 is_stmt 0               ; layer_norm_bwd.py:88:38
	s_and_b32 s56, vcc_lo, s0
	.loc	1 90 22 is_stmt 1               ; layer_norm_bwd.py:90:22
	s_and_saveexec_b32 s57, s56
	s_cbranch_execz .LBB0_89
; %bb.88:                               ;   in Loop: Header=BB0_3 Depth=1
	.loc	1 90 27 is_stmt 0               ; layer_norm_bwd.py:90:27
	s_waitcnt lgkmcnt(0)
	s_delay_alu instid0(VALU_DEP_1) | instskip(NEXT) | instid1(VALU_DEP_1)
	v_add_co_u32 v52, s0, s8, v134
	v_add_co_ci_u32_e64 v53, null, s9, v135, s0
	.loc	1 90 22                         ; layer_norm_bwd.py:90:22
	global_load_b32 v52, v[52:53], off
	s_waitcnt vmcnt(0)
	scratch_store_b32 off, v52, off offset:180 ; 4-byte Folded Spill
.LBB0_89:                               ;   in Loop: Header=BB0_3 Depth=1
	.loc	1 0 22                          ; layer_norm_bwd.py:0:22
	s_or_b32 exec_lo, exec_lo, s57
	.loc	1 87 19 is_stmt 1               ; layer_norm_bwd.py:87:19
	v_or_b32_e32 v136, 0x56, v176
	v_mov_b32_e32 v229, 0
	s_delay_alu instid0(VALU_DEP_2) | instskip(SKIP_3) | instid1(VALU_DEP_1)
	.loc	1 89 35                         ; layer_norm_bwd.py:89:35
	v_mad_u64_u32 v[52:53], null, v136, s3, v[1:2]
	.loc	1 88 32                         ; layer_norm_bwd.py:88:32
	v_cmp_gt_i32_e64 s0, s2, v136
	.loc	1 88 38 is_stmt 0               ; layer_norm_bwd.py:88:38
	s_and_b32 s57, vcc_lo, s0
	.loc	1 90 27 is_stmt 1               ; layer_norm_bwd.py:90:27
	v_ashrrev_i32_e32 v53, 31, v52
	v_lshlrev_b64 v[136:137], 2, v[52:53]
	v_mov_b32_e32 v52, 0
	.loc	1 88 38                         ; layer_norm_bwd.py:88:38
	scratch_store_b32 off, v52, off offset:188 ; 4-byte Folded Spill
	.loc	1 90 22                         ; layer_norm_bwd.py:90:22
	s_and_saveexec_b32 s58, s57
	s_cbranch_execz .LBB0_91
; %bb.90:                               ;   in Loop: Header=BB0_3 Depth=1
	.loc	1 90 27 is_stmt 0               ; layer_norm_bwd.py:90:27
	s_waitcnt lgkmcnt(0)
	v_add_co_u32 v52, s0, s8, v136
	s_delay_alu instid0(VALU_DEP_1)
	v_add_co_ci_u32_e64 v53, null, s9, v137, s0
	.loc	1 90 22                         ; layer_norm_bwd.py:90:22
	global_load_b32 v52, v[52:53], off
	s_waitcnt vmcnt(0)
	scratch_store_b32 off, v52, off offset:188 ; 4-byte Folded Spill
.LBB0_91:                               ;   in Loop: Header=BB0_3 Depth=1
	.loc	1 0 22                          ; layer_norm_bwd.py:0:22
	s_or_b32 exec_lo, exec_lo, s58
	.loc	1 89 35 is_stmt 1               ; layer_norm_bwd.py:89:35
	v_add_nc_u32_e32 v52, v178, v16
	.loc	1 87 19                         ; layer_norm_bwd.py:87:19
	v_add_nc_u32_e32 v138, 0x58, v176
	s_delay_alu instid0(VALU_DEP_2) | instskip(NEXT) | instid1(VALU_DEP_2)
	.loc	1 90 27                         ; layer_norm_bwd.py:90:27
	v_ashrrev_i32_e32 v53, 31, v52
	.loc	1 88 32                         ; layer_norm_bwd.py:88:32
	v_cmp_gt_i32_e64 s0, s2, v138
	s_delay_alu instid0(VALU_DEP_2) | instskip(SKIP_1) | instid1(SALU_CYCLE_1)
	v_lshlrev_b64 v[138:139], 2, v[52:53]
	.loc	1 88 38 is_stmt 0               ; layer_norm_bwd.py:88:38
	s_and_b32 s58, vcc_lo, s0
	.loc	1 90 22 is_stmt 1               ; layer_norm_bwd.py:90:22
	s_and_saveexec_b32 s59, s58
	s_cbranch_execz .LBB0_93
; %bb.92:                               ;   in Loop: Header=BB0_3 Depth=1
	.loc	1 90 27 is_stmt 0               ; layer_norm_bwd.py:90:27
	s_waitcnt lgkmcnt(0)
	s_delay_alu instid0(VALU_DEP_1) | instskip(NEXT) | instid1(VALU_DEP_1)
	v_add_co_u32 v52, s0, s8, v138
	v_add_co_ci_u32_e64 v53, null, s9, v139, s0
	.loc	1 90 22                         ; layer_norm_bwd.py:90:22
	global_load_b32 v229, v[52:53], off
.LBB0_93:                               ;   in Loop: Header=BB0_3 Depth=1
	.loc	1 0 22                          ; layer_norm_bwd.py:0:22
	s_or_b32 exec_lo, exec_lo, s59
	v_dual_mov_b32 v231, 0 :: v_dual_add_nc_u32 v52, v178, v15
	.loc	1 87 19 is_stmt 1               ; layer_norm_bwd.py:87:19
	v_add_nc_u32_e32 v140, 0x5a, v176
	v_mov_b32_e32 v232, 0
	s_delay_alu instid0(VALU_DEP_3) | instskip(NEXT) | instid1(VALU_DEP_3)
	.loc	1 90 27                         ; layer_norm_bwd.py:90:27
	v_ashrrev_i32_e32 v53, 31, v52
	.loc	1 88 32                         ; layer_norm_bwd.py:88:32
	v_cmp_gt_i32_e64 s0, s2, v140
	s_delay_alu instid0(VALU_DEP_2) | instskip(SKIP_1) | instid1(SALU_CYCLE_1)
	v_lshlrev_b64 v[140:141], 2, v[52:53]
	.loc	1 88 38 is_stmt 0               ; layer_norm_bwd.py:88:38
	s_and_b32 s59, vcc_lo, s0
	.loc	1 90 22 is_stmt 1               ; layer_norm_bwd.py:90:22
	s_and_saveexec_b32 s60, s59
	s_cbranch_execz .LBB0_95
; %bb.94:                               ;   in Loop: Header=BB0_3 Depth=1
	.loc	1 90 27 is_stmt 0               ; layer_norm_bwd.py:90:27
	s_waitcnt lgkmcnt(0)
	s_delay_alu instid0(VALU_DEP_1) | instskip(NEXT) | instid1(VALU_DEP_1)
	v_add_co_u32 v52, s0, s8, v140
	v_add_co_ci_u32_e64 v53, null, s9, v141, s0
	.loc	1 90 22                         ; layer_norm_bwd.py:90:22
	global_load_b32 v232, v[52:53], off
.LBB0_95:                               ;   in Loop: Header=BB0_3 Depth=1
	.loc	1 0 22                          ; layer_norm_bwd.py:0:22
	s_or_b32 exec_lo, exec_lo, s60
	.loc	1 89 35 is_stmt 1               ; layer_norm_bwd.py:89:35
	v_add_nc_u32_e32 v52, v178, v14
	.loc	1 87 19                         ; layer_norm_bwd.py:87:19
	v_add_nc_u32_e32 v142, 0x5c, v176
	s_delay_alu instid0(VALU_DEP_2) | instskip(NEXT) | instid1(VALU_DEP_2)
	.loc	1 90 27                         ; layer_norm_bwd.py:90:27
	v_ashrrev_i32_e32 v53, 31, v52
	.loc	1 88 32                         ; layer_norm_bwd.py:88:32
	v_cmp_gt_i32_e64 s0, s2, v142
	s_delay_alu instid0(VALU_DEP_2) | instskip(SKIP_1) | instid1(SALU_CYCLE_1)
	v_lshlrev_b64 v[142:143], 2, v[52:53]
	.loc	1 88 38 is_stmt 0               ; layer_norm_bwd.py:88:38
	s_and_b32 s60, vcc_lo, s0
	.loc	1 90 22 is_stmt 1               ; layer_norm_bwd.py:90:22
	s_and_saveexec_b32 s61, s60
	s_cbranch_execz .LBB0_97
; %bb.96:                               ;   in Loop: Header=BB0_3 Depth=1
	.loc	1 90 27 is_stmt 0               ; layer_norm_bwd.py:90:27
	s_waitcnt lgkmcnt(0)
	s_delay_alu instid0(VALU_DEP_1) | instskip(NEXT) | instid1(VALU_DEP_1)
	v_add_co_u32 v52, s0, s8, v142
	v_add_co_ci_u32_e64 v53, null, s9, v143, s0
	.loc	1 90 22                         ; layer_norm_bwd.py:90:22
	global_load_b32 v231, v[52:53], off
.LBB0_97:                               ;   in Loop: Header=BB0_3 Depth=1
	.loc	1 0 22                          ; layer_norm_bwd.py:0:22
	s_or_b32 exec_lo, exec_lo, s61
	.loc	1 87 19 is_stmt 1               ; layer_norm_bwd.py:87:19
	v_or_b32_e32 v144, 0x5e, v176
	v_mov_b32_e32 v13, 0
	v_mov_b32_e32 v233, 0
	s_delay_alu instid0(VALU_DEP_3) | instskip(SKIP_3) | instid1(VALU_DEP_1)
	.loc	1 89 35                         ; layer_norm_bwd.py:89:35
	v_mad_u64_u32 v[52:53], null, v144, s3, v[1:2]
	.loc	1 88 32                         ; layer_norm_bwd.py:88:32
	v_cmp_gt_i32_e64 s0, s2, v144
	.loc	1 88 38 is_stmt 0               ; layer_norm_bwd.py:88:38
	s_and_b32 s61, vcc_lo, s0
	.loc	1 90 27 is_stmt 1               ; layer_norm_bwd.py:90:27
	v_ashrrev_i32_e32 v53, 31, v52
	v_lshlrev_b64 v[144:145], 2, v[52:53]
	.loc	1 90 22 is_stmt 0               ; layer_norm_bwd.py:90:22
	s_and_saveexec_b32 s62, s61
	s_cbranch_execz .LBB0_99
; %bb.98:                               ;   in Loop: Header=BB0_3 Depth=1
	.loc	1 90 27                         ; layer_norm_bwd.py:90:27
	s_waitcnt lgkmcnt(0)
	s_delay_alu instid0(VALU_DEP_1) | instskip(NEXT) | instid1(VALU_DEP_1)
	v_add_co_u32 v52, s0, s8, v144
	v_add_co_ci_u32_e64 v53, null, s9, v145, s0
	.loc	1 90 22                         ; layer_norm_bwd.py:90:22
	global_load_b32 v233, v[52:53], off
.LBB0_99:                               ;   in Loop: Header=BB0_3 Depth=1
	.loc	1 0 22                          ; layer_norm_bwd.py:0:22
	s_or_b32 exec_lo, exec_lo, s62
	.loc	1 89 35 is_stmt 1               ; layer_norm_bwd.py:89:35
	v_add_nc_u32_e32 v52, v178, v12
	.loc	1 87 19                         ; layer_norm_bwd.py:87:19
	v_add_nc_u32_e32 v146, 0x60, v176
	s_delay_alu instid0(VALU_DEP_2) | instskip(NEXT) | instid1(VALU_DEP_2)
	.loc	1 90 27                         ; layer_norm_bwd.py:90:27
	v_ashrrev_i32_e32 v53, 31, v52
	.loc	1 88 32                         ; layer_norm_bwd.py:88:32
	v_cmp_gt_i32_e64 s0, s2, v146
	s_delay_alu instid0(VALU_DEP_2)
	v_lshlrev_b64 v[44:45], 2, v[52:53]
	.loc	1 88 38 is_stmt 0               ; layer_norm_bwd.py:88:38
	s_and_b32 s62, vcc_lo, s0
	scratch_store_b64 off, v[44:45], off offset:496 ; 8-byte Folded Spill
	.loc	1 90 22 is_stmt 1               ; layer_norm_bwd.py:90:22
	s_and_saveexec_b32 s63, s62
	s_cbranch_execz .LBB0_101
; %bb.100:                              ;   in Loop: Header=BB0_3 Depth=1
	.loc	1 0 22 is_stmt 0                ; layer_norm_bwd.py:0:22
	scratch_load_b64 v[44:45], off, off offset:496 ; 8-byte Folded Reload
	.loc	1 90 27                         ; layer_norm_bwd.py:90:27
	s_waitcnt vmcnt(0) lgkmcnt(0)
	v_add_co_u32 v52, s0, s8, v44
	s_delay_alu instid0(VALU_DEP_1)
	v_add_co_ci_u32_e64 v53, null, s9, v45, s0
	.loc	1 90 22                         ; layer_norm_bwd.py:90:22
	global_load_b32 v13, v[52:53], off
.LBB0_101:                              ;   in Loop: Header=BB0_3 Depth=1
	.loc	1 0 22                          ; layer_norm_bwd.py:0:22
	s_or_b32 exec_lo, exec_lo, s63
	.loc	1 89 35 is_stmt 1               ; layer_norm_bwd.py:89:35
	v_add_nc_u32_e32 v52, v178, v11
	.loc	1 87 19                         ; layer_norm_bwd.py:87:19
	v_add_nc_u32_e32 v148, 0x62, v176
	v_mov_b32_e32 v26, 0
	v_mov_b32_e32 v44, 0
	s_delay_alu instid0(VALU_DEP_4) | instskip(NEXT) | instid1(VALU_DEP_4)
	.loc	1 90 27                         ; layer_norm_bwd.py:90:27
	v_ashrrev_i32_e32 v53, 31, v52
	.loc	1 88 32                         ; layer_norm_bwd.py:88:32
	v_cmp_gt_i32_e64 s0, s2, v148
	s_delay_alu instid0(VALU_DEP_2) | instskip(SKIP_1) | instid1(SALU_CYCLE_1)
	v_lshlrev_b64 v[148:149], 2, v[52:53]
	.loc	1 88 38 is_stmt 0               ; layer_norm_bwd.py:88:38
	s_and_b32 s63, vcc_lo, s0
	.loc	1 90 22 is_stmt 1               ; layer_norm_bwd.py:90:22
	s_and_saveexec_b32 s64, s63
	s_cbranch_execz .LBB0_103
; %bb.102:                              ;   in Loop: Header=BB0_3 Depth=1
	.loc	1 90 27 is_stmt 0               ; layer_norm_bwd.py:90:27
	s_waitcnt lgkmcnt(0)
	s_delay_alu instid0(VALU_DEP_1) | instskip(NEXT) | instid1(VALU_DEP_1)
	v_add_co_u32 v52, s0, s8, v148
	v_add_co_ci_u32_e64 v53, null, s9, v149, s0
	.loc	1 90 22                         ; layer_norm_bwd.py:90:22
	global_load_b32 v44, v[52:53], off
.LBB0_103:                              ;   in Loop: Header=BB0_3 Depth=1
	.loc	1 0 22                          ; layer_norm_bwd.py:0:22
	s_or_b32 exec_lo, exec_lo, s64
	.loc	1 89 35 is_stmt 1               ; layer_norm_bwd.py:89:35
	v_add_nc_u32_e32 v52, v178, v10
	.loc	1 87 19                         ; layer_norm_bwd.py:87:19
	v_add_nc_u32_e32 v150, 0x64, v176
	s_delay_alu instid0(VALU_DEP_2) | instskip(NEXT) | instid1(VALU_DEP_2)
	.loc	1 90 27                         ; layer_norm_bwd.py:90:27
	v_ashrrev_i32_e32 v53, 31, v52
	.loc	1 88 32                         ; layer_norm_bwd.py:88:32
	v_cmp_gt_i32_e64 s0, s2, v150
	s_delay_alu instid0(VALU_DEP_2) | instskip(SKIP_1) | instid1(SALU_CYCLE_1)
	v_lshlrev_b64 v[150:151], 2, v[52:53]
	.loc	1 88 38 is_stmt 0               ; layer_norm_bwd.py:88:38
	s_and_b32 s64, vcc_lo, s0
	.loc	1 90 22 is_stmt 1               ; layer_norm_bwd.py:90:22
	s_and_saveexec_b32 s65, s64
	s_cbranch_execz .LBB0_105
; %bb.104:                              ;   in Loop: Header=BB0_3 Depth=1
	.loc	1 90 27 is_stmt 0               ; layer_norm_bwd.py:90:27
	s_waitcnt lgkmcnt(0)
	s_delay_alu instid0(VALU_DEP_1) | instskip(NEXT) | instid1(VALU_DEP_1)
	v_add_co_u32 v52, s0, s8, v150
	v_add_co_ci_u32_e64 v53, null, s9, v151, s0
	.loc	1 90 22                         ; layer_norm_bwd.py:90:22
	global_load_b32 v26, v[52:53], off
.LBB0_105:                              ;   in Loop: Header=BB0_3 Depth=1
	.loc	1 0 22                          ; layer_norm_bwd.py:0:22
	s_or_b32 exec_lo, exec_lo, s65
	.loc	1 87 19 is_stmt 1               ; layer_norm_bwd.py:87:19
	v_or_b32_e32 v152, 0x66, v176
	v_mov_b32_e32 v45, 0
	v_mov_b32_e32 v235, 0
	s_delay_alu instid0(VALU_DEP_3) | instskip(SKIP_3) | instid1(VALU_DEP_1)
	.loc	1 89 35                         ; layer_norm_bwd.py:89:35
	v_mad_u64_u32 v[52:53], null, v152, s3, v[1:2]
	.loc	1 88 32                         ; layer_norm_bwd.py:88:32
	v_cmp_gt_i32_e64 s0, s2, v152
	.loc	1 88 38 is_stmt 0               ; layer_norm_bwd.py:88:38
	s_and_b32 s65, vcc_lo, s0
	.loc	1 90 27 is_stmt 1               ; layer_norm_bwd.py:90:27
	v_ashrrev_i32_e32 v53, 31, v52
	v_lshlrev_b64 v[152:153], 2, v[52:53]
	.loc	1 90 22 is_stmt 0               ; layer_norm_bwd.py:90:22
	s_and_saveexec_b32 s66, s65
	s_cbranch_execz .LBB0_107
; %bb.106:                              ;   in Loop: Header=BB0_3 Depth=1
	.loc	1 90 27                         ; layer_norm_bwd.py:90:27
	s_waitcnt lgkmcnt(0)
	s_delay_alu instid0(VALU_DEP_1) | instskip(NEXT) | instid1(VALU_DEP_1)
	v_add_co_u32 v52, s0, s8, v152
	v_add_co_ci_u32_e64 v53, null, s9, v153, s0
	.loc	1 90 22                         ; layer_norm_bwd.py:90:22
	global_load_b32 v235, v[52:53], off
.LBB0_107:                              ;   in Loop: Header=BB0_3 Depth=1
	.loc	1 0 22                          ; layer_norm_bwd.py:0:22
	s_or_b32 exec_lo, exec_lo, s66
	.loc	1 89 35 is_stmt 1               ; layer_norm_bwd.py:89:35
	v_add_nc_u32_e32 v52, v178, v9
	.loc	1 87 19                         ; layer_norm_bwd.py:87:19
	v_add_nc_u32_e32 v154, 0x68, v176
	s_delay_alu instid0(VALU_DEP_2) | instskip(NEXT) | instid1(VALU_DEP_2)
	.loc	1 90 27                         ; layer_norm_bwd.py:90:27
	v_ashrrev_i32_e32 v53, 31, v52
	.loc	1 88 32                         ; layer_norm_bwd.py:88:32
	v_cmp_gt_i32_e64 s0, s2, v154
	s_delay_alu instid0(VALU_DEP_2) | instskip(SKIP_1) | instid1(SALU_CYCLE_1)
	v_lshlrev_b64 v[154:155], 2, v[52:53]
	.loc	1 88 38 is_stmt 0               ; layer_norm_bwd.py:88:38
	s_and_b32 s66, vcc_lo, s0
	.loc	1 90 22 is_stmt 1               ; layer_norm_bwd.py:90:22
	s_and_saveexec_b32 s67, s66
	s_cbranch_execz .LBB0_109
; %bb.108:                              ;   in Loop: Header=BB0_3 Depth=1
	.loc	1 90 27 is_stmt 0               ; layer_norm_bwd.py:90:27
	s_waitcnt lgkmcnt(0)
	s_delay_alu instid0(VALU_DEP_1) | instskip(NEXT) | instid1(VALU_DEP_1)
	v_add_co_u32 v52, s0, s8, v154
	v_add_co_ci_u32_e64 v53, null, s9, v155, s0
	.loc	1 90 22                         ; layer_norm_bwd.py:90:22
	global_load_b32 v45, v[52:53], off
.LBB0_109:                              ;   in Loop: Header=BB0_3 Depth=1
	.loc	1 0 22                          ; layer_norm_bwd.py:0:22
	s_or_b32 exec_lo, exec_lo, s67
	.loc	1 89 35 is_stmt 1               ; layer_norm_bwd.py:89:35
	v_add_nc_u32_e32 v52, v178, v8
	.loc	1 87 19                         ; layer_norm_bwd.py:87:19
	v_add_nc_u32_e32 v156, 0x6a, v176
	v_mov_b32_e32 v48, 0
	v_mov_b32_e32 v118, 0
	s_delay_alu instid0(VALU_DEP_4) | instskip(NEXT) | instid1(VALU_DEP_4)
	.loc	1 90 27                         ; layer_norm_bwd.py:90:27
	v_ashrrev_i32_e32 v53, 31, v52
	.loc	1 88 32                         ; layer_norm_bwd.py:88:32
	v_cmp_gt_i32_e64 s0, s2, v156
	s_delay_alu instid0(VALU_DEP_2) | instskip(SKIP_1) | instid1(SALU_CYCLE_1)
	v_lshlrev_b64 v[156:157], 2, v[52:53]
	.loc	1 88 38 is_stmt 0               ; layer_norm_bwd.py:88:38
	s_and_b32 s67, vcc_lo, s0
	.loc	1 90 22 is_stmt 1               ; layer_norm_bwd.py:90:22
	s_and_saveexec_b32 s68, s67
	s_cbranch_execz .LBB0_111
; %bb.110:                              ;   in Loop: Header=BB0_3 Depth=1
	.loc	1 90 27 is_stmt 0               ; layer_norm_bwd.py:90:27
	s_waitcnt lgkmcnt(0)
	s_delay_alu instid0(VALU_DEP_1) | instskip(NEXT) | instid1(VALU_DEP_1)
	v_add_co_u32 v52, s0, s8, v156
	v_add_co_ci_u32_e64 v53, null, s9, v157, s0
	.loc	1 90 22                         ; layer_norm_bwd.py:90:22
	global_load_b32 v118, v[52:53], off
.LBB0_111:                              ;   in Loop: Header=BB0_3 Depth=1
	.loc	1 0 22                          ; layer_norm_bwd.py:0:22
	s_or_b32 exec_lo, exec_lo, s68
	.loc	1 89 35 is_stmt 1               ; layer_norm_bwd.py:89:35
	v_add_nc_u32_e32 v158, v178, v7
	.loc	1 87 19                         ; layer_norm_bwd.py:87:19
	v_add_nc_u32_e32 v53, 0x6c, v176
	s_delay_alu instid0(VALU_DEP_2) | instskip(NEXT) | instid1(VALU_DEP_2)
	.loc	1 90 27                         ; layer_norm_bwd.py:90:27
	v_ashrrev_i32_e32 v159, 31, v158
	.loc	1 88 32                         ; layer_norm_bwd.py:88:32
	v_cmp_gt_i32_e64 s0, s2, v53
	s_delay_alu instid0(VALU_DEP_2) | instskip(SKIP_1) | instid1(SALU_CYCLE_1)
	v_lshlrev_b64 v[158:159], 2, v[158:159]
	.loc	1 88 38 is_stmt 0               ; layer_norm_bwd.py:88:38
	s_and_b32 s68, vcc_lo, s0
	.loc	1 90 22 is_stmt 1               ; layer_norm_bwd.py:90:22
	s_and_saveexec_b32 s69, s68
	s_cbranch_execz .LBB0_113
; %bb.112:                              ;   in Loop: Header=BB0_3 Depth=1
	.loc	1 90 27 is_stmt 0               ; layer_norm_bwd.py:90:27
	s_waitcnt lgkmcnt(0)
	s_delay_alu instid0(VALU_DEP_1) | instskip(NEXT) | instid1(VALU_DEP_1)
	v_add_co_u32 v160, s0, s8, v158
	v_add_co_ci_u32_e64 v161, null, s9, v159, s0
	.loc	1 90 22                         ; layer_norm_bwd.py:90:22
	global_load_b32 v48, v[160:161], off
.LBB0_113:                              ;   in Loop: Header=BB0_3 Depth=1
	.loc	1 0 22                          ; layer_norm_bwd.py:0:22
	s_or_b32 exec_lo, exec_lo, s69
	.loc	1 87 19 is_stmt 1               ; layer_norm_bwd.py:87:19
	v_or_b32_e32 v53, 0x6e, v176
	v_mov_b32_e32 v119, 0
	v_mov_b32_e32 v49, 0
	s_delay_alu instid0(VALU_DEP_3) | instskip(SKIP_3) | instid1(VALU_DEP_1)
	.loc	1 89 35                         ; layer_norm_bwd.py:89:35
	v_mad_u64_u32 v[160:161], null, v53, s3, v[1:2]
	.loc	1 88 32                         ; layer_norm_bwd.py:88:32
	v_cmp_gt_i32_e64 s0, s2, v53
	.loc	1 88 38 is_stmt 0               ; layer_norm_bwd.py:88:38
	s_and_b32 s69, vcc_lo, s0
	.loc	1 90 27 is_stmt 1               ; layer_norm_bwd.py:90:27
	v_ashrrev_i32_e32 v161, 31, v160
	v_lshlrev_b64 v[160:161], 2, v[160:161]
	.loc	1 90 22 is_stmt 0               ; layer_norm_bwd.py:90:22
	s_and_saveexec_b32 s70, s69
	s_cbranch_execz .LBB0_115
; %bb.114:                              ;   in Loop: Header=BB0_3 Depth=1
	.loc	1 90 27                         ; layer_norm_bwd.py:90:27
	s_waitcnt lgkmcnt(0)
	s_delay_alu instid0(VALU_DEP_1) | instskip(NEXT) | instid1(VALU_DEP_1)
	v_add_co_u32 v162, s0, s8, v160
	v_add_co_ci_u32_e64 v163, null, s9, v161, s0
	.loc	1 90 22                         ; layer_norm_bwd.py:90:22
	global_load_b32 v49, v[162:163], off
.LBB0_115:                              ;   in Loop: Header=BB0_3 Depth=1
	.loc	1 0 22                          ; layer_norm_bwd.py:0:22
	s_or_b32 exec_lo, exec_lo, s70
	.loc	1 89 35 is_stmt 1               ; layer_norm_bwd.py:89:35
	scratch_load_b64 v[52:53], off, off     ; 8-byte Folded Reload
	.loc	1 87 19                         ; layer_norm_bwd.py:87:19
	s_waitcnt vmcnt(0)
	v_add_nc_u32_e32 v53, 0x70, v176
	s_delay_alu instid0(VALU_DEP_1) | instskip(SKIP_2) | instid1(VALU_DEP_1)
	.loc	1 88 32                         ; layer_norm_bwd.py:88:32
	v_cmp_gt_i32_e64 s0, s2, v53
	.loc	1 88 38 is_stmt 0               ; layer_norm_bwd.py:88:38
	s_and_b32 s70, vcc_lo, s0
	.loc	1 89 35 is_stmt 1               ; layer_norm_bwd.py:89:35
	v_add_nc_u32_e32 v162, v178, v52
	.loc	1 90 27                         ; layer_norm_bwd.py:90:27
	v_ashrrev_i32_e32 v163, 31, v162
	s_delay_alu instid0(VALU_DEP_1)
	v_lshlrev_b64 v[162:163], 2, v[162:163]
	.loc	1 90 22 is_stmt 0               ; layer_norm_bwd.py:90:22
	s_and_saveexec_b32 s71, s70
	s_cbranch_execz .LBB0_117
; %bb.116:                              ;   in Loop: Header=BB0_3 Depth=1
	.loc	1 90 27                         ; layer_norm_bwd.py:90:27
	s_waitcnt lgkmcnt(0)
	s_delay_alu instid0(VALU_DEP_1) | instskip(NEXT) | instid1(VALU_DEP_1)
	v_add_co_u32 v164, s0, s8, v162
	v_add_co_ci_u32_e64 v165, null, s9, v163, s0
	.loc	1 90 22                         ; layer_norm_bwd.py:90:22
	global_load_b32 v119, v[164:165], off
.LBB0_117:                              ;   in Loop: Header=BB0_3 Depth=1
	.loc	1 0 22                          ; layer_norm_bwd.py:0:22
	s_or_b32 exec_lo, exec_lo, s71
	v_dual_mov_b32 v239, 0 :: v_dual_add_nc_u32 v164, v178, v6
	v_dual_mov_b32 v236, 0 :: v_dual_add_nc_u32 v53, 0x72, v176
	s_delay_alu instid0(VALU_DEP_2) | instskip(NEXT) | instid1(VALU_DEP_2)
	.loc	1 90 27                         ; layer_norm_bwd.py:90:27
	v_ashrrev_i32_e32 v165, 31, v164
	.loc	1 88 32 is_stmt 1               ; layer_norm_bwd.py:88:32
	v_cmp_gt_i32_e64 s0, s2, v53
	s_delay_alu instid0(VALU_DEP_2) | instskip(SKIP_1) | instid1(SALU_CYCLE_1)
	v_lshlrev_b64 v[164:165], 2, v[164:165]
	.loc	1 88 38 is_stmt 0               ; layer_norm_bwd.py:88:38
	s_and_b32 s71, vcc_lo, s0
	.loc	1 90 22 is_stmt 1               ; layer_norm_bwd.py:90:22
	s_and_saveexec_b32 s72, s71
	s_cbranch_execz .LBB0_119
; %bb.118:                              ;   in Loop: Header=BB0_3 Depth=1
	.loc	1 90 27 is_stmt 0               ; layer_norm_bwd.py:90:27
	s_waitcnt lgkmcnt(0)
	s_delay_alu instid0(VALU_DEP_1) | instskip(NEXT) | instid1(VALU_DEP_1)
	v_add_co_u32 v166, s0, s8, v164
	v_add_co_ci_u32_e64 v167, null, s9, v165, s0
	.loc	1 90 22                         ; layer_norm_bwd.py:90:22
	global_load_b32 v239, v[166:167], off
.LBB0_119:                              ;   in Loop: Header=BB0_3 Depth=1
	.loc	1 0 22                          ; layer_norm_bwd.py:0:22
	s_or_b32 exec_lo, exec_lo, s72
	.loc	1 89 35 is_stmt 1               ; layer_norm_bwd.py:89:35
	v_add_nc_u32_e32 v166, v178, v5
	.loc	1 87 19                         ; layer_norm_bwd.py:87:19
	v_add_nc_u32_e32 v53, 0x74, v176
	s_delay_alu instid0(VALU_DEP_2) | instskip(NEXT) | instid1(VALU_DEP_2)
	.loc	1 90 27                         ; layer_norm_bwd.py:90:27
	v_ashrrev_i32_e32 v167, 31, v166
	.loc	1 88 32                         ; layer_norm_bwd.py:88:32
	v_cmp_gt_i32_e64 s0, s2, v53
	s_delay_alu instid0(VALU_DEP_2) | instskip(SKIP_1) | instid1(SALU_CYCLE_1)
	v_lshlrev_b64 v[166:167], 2, v[166:167]
	.loc	1 88 38 is_stmt 0               ; layer_norm_bwd.py:88:38
	s_and_b32 s72, vcc_lo, s0
	.loc	1 90 22 is_stmt 1               ; layer_norm_bwd.py:90:22
	s_and_saveexec_b32 s73, s72
	s_cbranch_execz .LBB0_121
; %bb.120:                              ;   in Loop: Header=BB0_3 Depth=1
	.loc	1 90 27 is_stmt 0               ; layer_norm_bwd.py:90:27
	s_waitcnt lgkmcnt(0)
	s_delay_alu instid0(VALU_DEP_1) | instskip(NEXT) | instid1(VALU_DEP_1)
	v_add_co_u32 v168, s0, s8, v166
	v_add_co_ci_u32_e64 v169, null, s9, v167, s0
	.loc	1 90 22                         ; layer_norm_bwd.py:90:22
	global_load_b32 v236, v[168:169], off
.LBB0_121:                              ;   in Loop: Header=BB0_3 Depth=1
	.loc	1 0 22                          ; layer_norm_bwd.py:0:22
	s_or_b32 exec_lo, exec_lo, s73
	.loc	1 87 19 is_stmt 1               ; layer_norm_bwd.py:87:19
	v_or_b32_e32 v53, 0x76, v176
	v_dual_mov_b32 v147, 0 :: v_dual_mov_b32 v146, 0
	s_delay_alu instid0(VALU_DEP_2) | instskip(SKIP_3) | instid1(VALU_DEP_1)
	.loc	1 89 35                         ; layer_norm_bwd.py:89:35
	v_mad_u64_u32 v[168:169], null, v53, s3, v[1:2]
	.loc	1 88 32                         ; layer_norm_bwd.py:88:32
	v_cmp_gt_i32_e64 s0, s2, v53
	.loc	1 88 38 is_stmt 0               ; layer_norm_bwd.py:88:38
	s_and_b32 s73, vcc_lo, s0
	.loc	1 90 27 is_stmt 1               ; layer_norm_bwd.py:90:27
	v_ashrrev_i32_e32 v169, 31, v168
	v_lshlrev_b64 v[168:169], 2, v[168:169]
	.loc	1 90 22 is_stmt 0               ; layer_norm_bwd.py:90:22
	s_and_saveexec_b32 s74, s73
	s_cbranch_execz .LBB0_123
; %bb.122:                              ;   in Loop: Header=BB0_3 Depth=1
	.loc	1 90 27                         ; layer_norm_bwd.py:90:27
	s_waitcnt lgkmcnt(0)
	s_delay_alu instid0(VALU_DEP_1) | instskip(NEXT) | instid1(VALU_DEP_1)
	v_add_co_u32 v170, s0, s8, v168
	v_add_co_ci_u32_e64 v171, null, s9, v169, s0
	.loc	1 90 22                         ; layer_norm_bwd.py:90:22
	global_load_b32 v146, v[170:171], off
.LBB0_123:                              ;   in Loop: Header=BB0_3 Depth=1
	.loc	1 0 22                          ; layer_norm_bwd.py:0:22
	s_or_b32 exec_lo, exec_lo, s74
	.loc	1 89 35 is_stmt 1               ; layer_norm_bwd.py:89:35
	v_add_nc_u32_e32 v170, v178, v4
	.loc	1 87 19                         ; layer_norm_bwd.py:87:19
	v_add_nc_u32_e32 v53, 0x78, v176
	s_delay_alu instid0(VALU_DEP_2) | instskip(NEXT) | instid1(VALU_DEP_2)
	.loc	1 90 27                         ; layer_norm_bwd.py:90:27
	v_ashrrev_i32_e32 v171, 31, v170
	.loc	1 88 32                         ; layer_norm_bwd.py:88:32
	v_cmp_gt_i32_e64 s0, s2, v53
	s_delay_alu instid0(VALU_DEP_2) | instskip(SKIP_1) | instid1(SALU_CYCLE_1)
	v_lshlrev_b64 v[170:171], 2, v[170:171]
	.loc	1 88 38 is_stmt 0               ; layer_norm_bwd.py:88:38
	s_and_b32 s74, vcc_lo, s0
	.loc	1 90 22 is_stmt 1               ; layer_norm_bwd.py:90:22
	s_and_saveexec_b32 s75, s74
	s_cbranch_execz .LBB0_125
; %bb.124:                              ;   in Loop: Header=BB0_3 Depth=1
	.loc	1 90 27 is_stmt 0               ; layer_norm_bwd.py:90:27
	s_waitcnt lgkmcnt(0)
	s_delay_alu instid0(VALU_DEP_1) | instskip(NEXT) | instid1(VALU_DEP_1)
	v_add_co_u32 v172, s0, s8, v170
	v_add_co_ci_u32_e64 v173, null, s9, v171, s0
	.loc	1 90 22                         ; layer_norm_bwd.py:90:22
	global_load_b32 v147, v[172:173], off
.LBB0_125:                              ;   in Loop: Header=BB0_3 Depth=1
	.loc	1 0 22                          ; layer_norm_bwd.py:0:22
	s_or_b32 exec_lo, exec_lo, s75
	v_dual_mov_b32 v237, 0 :: v_dual_add_nc_u32 v172, v178, v3
	v_dual_mov_b32 v52, 0 :: v_dual_add_nc_u32 v53, 0x7a, v176
	s_delay_alu instid0(VALU_DEP_2) | instskip(NEXT) | instid1(VALU_DEP_2)
	.loc	1 90 27                         ; layer_norm_bwd.py:90:27
	v_ashrrev_i32_e32 v173, 31, v172
	.loc	1 88 32 is_stmt 1               ; layer_norm_bwd.py:88:32
	v_cmp_gt_i32_e64 s0, s2, v53
	.loc	1 88 38 is_stmt 0               ; layer_norm_bwd.py:88:38
	scratch_store_b32 off, v52, off offset:192 ; 4-byte Folded Spill
	v_lshlrev_b64 v[172:173], 2, v[172:173]
	s_and_b32 s75, vcc_lo, s0
	s_delay_alu instid0(SALU_CYCLE_1)
	.loc	1 90 22 is_stmt 1               ; layer_norm_bwd.py:90:22
	s_and_saveexec_b32 s76, s75
	s_cbranch_execz .LBB0_127
; %bb.126:                              ;   in Loop: Header=BB0_3 Depth=1
	.loc	1 90 27 is_stmt 0               ; layer_norm_bwd.py:90:27
	s_waitcnt lgkmcnt(0)
	s_delay_alu instid0(VALU_DEP_1) | instskip(NEXT) | instid1(VALU_DEP_1)
	v_add_co_u32 v174, s0, s8, v172
	v_add_co_ci_u32_e64 v175, null, s9, v173, s0
	.loc	1 90 22                         ; layer_norm_bwd.py:90:22
	global_load_b32 v52, v[174:175], off
	s_waitcnt vmcnt(0)
	scratch_store_b32 off, v52, off offset:192 ; 4-byte Folded Spill
.LBB0_127:                              ;   in Loop: Header=BB0_3 Depth=1
	.loc	1 0 22                          ; layer_norm_bwd.py:0:22
	s_or_b32 exec_lo, exec_lo, s76
	.loc	1 89 35 is_stmt 1               ; layer_norm_bwd.py:89:35
	v_add_nc_u32_e32 v174, v178, v2
	.loc	1 87 19                         ; layer_norm_bwd.py:87:19
	v_add_nc_u32_e32 v177, 0x7c, v176
	s_delay_alu instid0(VALU_DEP_2) | instskip(NEXT) | instid1(VALU_DEP_2)
	.loc	1 90 27                         ; layer_norm_bwd.py:90:27
	v_ashrrev_i32_e32 v175, 31, v174
	.loc	1 88 32                         ; layer_norm_bwd.py:88:32
	v_cmp_gt_i32_e64 s0, s2, v177
	s_delay_alu instid0(VALU_DEP_2) | instskip(SKIP_1) | instid1(SALU_CYCLE_1)
	v_lshlrev_b64 v[174:175], 2, v[174:175]
	.loc	1 88 38 is_stmt 0               ; layer_norm_bwd.py:88:38
	s_and_b32 s76, vcc_lo, s0
	.loc	1 90 22 is_stmt 1               ; layer_norm_bwd.py:90:22
	s_and_saveexec_b32 s77, s76
	s_cbranch_execz .LBB0_129
; %bb.128:                              ;   in Loop: Header=BB0_3 Depth=1
	.loc	1 90 27 is_stmt 0               ; layer_norm_bwd.py:90:27
	s_waitcnt lgkmcnt(0)
	s_delay_alu instid0(VALU_DEP_1) | instskip(NEXT) | instid1(VALU_DEP_1)
	v_add_co_u32 v237, s0, s8, v174
	v_add_co_ci_u32_e64 v238, null, s9, v175, s0
	.loc	1 90 22                         ; layer_norm_bwd.py:90:22
	global_load_b32 v237, v[237:238], off
.LBB0_129:                              ;   in Loop: Header=BB0_3 Depth=1
	.loc	1 0 22                          ; layer_norm_bwd.py:0:22
	s_or_b32 exec_lo, exec_lo, s77
	.loc	1 87 19 is_stmt 1               ; layer_norm_bwd.py:87:19
	v_or_b32_e32 v238, 0x7e, v176
	v_mov_b32_e32 v52, 0
	s_delay_alu instid0(VALU_DEP_2)
	.loc	1 89 35                         ; layer_norm_bwd.py:89:35
	v_mad_u64_u32 v[176:177], null, v238, s3, v[1:2]
	.loc	1 88 32                         ; layer_norm_bwd.py:88:32
	v_cmp_gt_i32_e64 s0, s2, v238
	v_mov_b32_e32 v238, 0
	.loc	1 88 38 is_stmt 0               ; layer_norm_bwd.py:88:38
	scratch_store_b32 off, v52, off offset:196 ; 4-byte Folded Spill
	s_and_b32 s77, vcc_lo, s0
	.loc	1 90 27 is_stmt 1               ; layer_norm_bwd.py:90:27
	v_ashrrev_i32_e32 v177, 31, v176
	s_delay_alu instid0(VALU_DEP_1)
	v_lshlrev_b64 v[176:177], 2, v[176:177]
	.loc	1 90 22 is_stmt 0               ; layer_norm_bwd.py:90:22
	s_and_saveexec_b32 s78, s77
	s_cbranch_execz .LBB0_131
; %bb.130:                              ;   in Loop: Header=BB0_3 Depth=1
	.loc	1 0 22                          ; layer_norm_bwd.py:0:22
	v_dual_mov_b32 v54, v250 :: v_dual_mov_b32 v55, v251
	v_dual_mov_b32 v250, v248 :: v_dual_mov_b32 v251, v249
	;; [unrolled: 1-line block ×5, first 2 shown]
	v_mov_b32_e32 v242, v240
	.loc	1 90 27                         ; layer_norm_bwd.py:90:27
	s_waitcnt lgkmcnt(0)
	v_add_co_u32 v240, s0, s8, v176
	s_delay_alu instid0(VALU_DEP_1)
	v_add_co_ci_u32_e64 v241, null, s9, v177, s0
	.loc	1 90 22                         ; layer_norm_bwd.py:90:22
	global_load_b32 v52, v[240:241], off
	v_mov_b32_e32 v241, v243
	v_dual_mov_b32 v243, v247 :: v_dual_mov_b32 v240, v242
	v_dual_mov_b32 v247, v249 :: v_dual_mov_b32 v242, v244
	v_dual_mov_b32 v249, v251 :: v_dual_mov_b32 v244, v246
	v_dual_mov_b32 v251, v55 :: v_dual_mov_b32 v246, v248
	v_mov_b32_e32 v248, v250
	v_mov_b32_e32 v250, v54
	s_waitcnt vmcnt(0)
	scratch_store_b32 off, v52, off offset:196 ; 4-byte Folded Spill
.LBB0_131:                              ;   in Loop: Header=BB0_3 Depth=1
	.loc	1 0 22                          ; layer_norm_bwd.py:0:22
	s_or_b32 exec_lo, exec_lo, s78
	.loc	1 91 22 is_stmt 1               ; layer_norm_bwd.py:91:22
	s_and_saveexec_b32 s78, s13
	s_cbranch_execz .LBB0_133
; %bb.132:                              ;   in Loop: Header=BB0_3 Depth=1
	.loc	1 0 22 is_stmt 0                ; layer_norm_bwd.py:0:22
	v_lshlrev_b64 v[50:51], 2, v[50:51]
	s_waitcnt lgkmcnt(0)
	s_delay_alu instid0(VALU_DEP_1) | instskip(NEXT) | instid1(VALU_DEP_1)
	v_add_co_u32 v50, s0, s10, v50
	v_add_co_ci_u32_e64 v51, null, s11, v51, s0
	.loc	1 91 22                         ; layer_norm_bwd.py:91:22
	global_load_b32 v238, v[50:51], off
.LBB0_133:                              ;   in Loop: Header=BB0_3 Depth=1
	.loc	1 0 22                          ; layer_norm_bwd.py:0:22
	s_or_b32 exec_lo, exec_lo, s78
	v_dual_mov_b32 v50, 0 :: v_dual_mov_b32 v51, 0
	.loc	1 91 22                         ; layer_norm_bwd.py:91:22
	s_and_saveexec_b32 s13, s14
	s_cbranch_execz .LBB0_135
; %bb.134:                              ;   in Loop: Header=BB0_3 Depth=1
	.loc	1 0 22                          ; layer_norm_bwd.py:0:22
	v_mov_b32_e32 v52, v228
	s_waitcnt vmcnt(0)
	v_dual_mov_b32 v50, v147 :: v_dual_mov_b32 v147, v146
	v_mov_b32_e32 v146, v145
	v_dual_mov_b32 v54, v250 :: v_dual_mov_b32 v145, v144
	v_mov_b32_e32 v144, v143
	v_dual_mov_b32 v143, v142 :: v_dual_mov_b32 v142, v141
	v_dual_mov_b32 v250, v248 :: v_dual_mov_b32 v53, v118
	;; [unrolled: 1-line block ×3, first 2 shown]
	v_mov_b32_e32 v140, v139
	v_dual_mov_b32 v246, v244 :: v_dual_mov_b32 v139, v138
	v_mov_b32_e32 v138, v137
	v_dual_mov_b32 v244, v242 :: v_dual_mov_b32 v137, v136
	v_dual_mov_b32 v136, v135 :: v_dual_mov_b32 v51, v238
	v_dual_mov_b32 v242, v240 :: v_dual_mov_b32 v135, v134
	v_mov_b32_e32 v134, v133
	v_dual_mov_b32 v133, v132 :: v_dual_mov_b32 v132, v131
	v_dual_mov_b32 v131, v130 :: v_dual_mov_b32 v130, v129
	;; [unrolled: 1-line block ×6, first 2 shown]
	v_mov_b32_e32 v122, v121
	v_dual_mov_b32 v121, v120 :: v_dual_mov_b32 v120, v49
	v_mov_b32_e32 v49, v119
	v_dual_mov_b32 v119, v117 :: v_dual_mov_b32 v118, v116
	v_dual_mov_b32 v117, v115 :: v_dual_mov_b32 v116, v114
	;; [unrolled: 1-line block ×6, first 2 shown]
	v_mov_b32_e32 v57, v237
	v_dual_mov_b32 v107, v105 :: v_dual_mov_b32 v106, v104
	v_dual_mov_b32 v105, v103 :: v_dual_mov_b32 v104, v102
	v_mov_b32_e32 v237, v48
	v_dual_mov_b32 v103, v101 :: v_dual_mov_b32 v102, v100
	v_dual_mov_b32 v100, v47 :: v_dual_mov_b32 v123, v236
	;; [unrolled: 1-line block ×3, first 2 shown]
	v_mov_b32_e32 v46, v98
	v_dual_mov_b32 v101, v234 :: v_dual_mov_b32 v234, v233
	v_mov_b32_e32 v47, v99
	v_dual_mov_b32 v99, v43 :: v_dual_mov_b32 v236, v45
	v_dual_mov_b32 v45, v44 :: v_dual_mov_b32 v44, v41
	v_mov_b32_e32 v43, v40
	v_mov_b32_e32 v40, v96
	v_dual_mov_b32 v98, v42 :: v_dual_mov_b32 v41, v97
	v_dual_mov_b32 v42, v39 :: v_dual_mov_b32 v39, v36
	;; [unrolled: 1-line block ×6, first 2 shown]
	v_mov_b32_e32 v94, v31
	v_dual_mov_b32 v32, v30 :: v_dual_mov_b32 v31, v29
	v_dual_mov_b32 v30, v28 :: v_dual_mov_b32 v29, v27
	;; [unrolled: 1-line block ×4, first 2 shown]
	v_mov_b32_e32 v93, v25
	v_dual_mov_b32 v25, v22 :: v_dual_mov_b32 v24, v21
	v_dual_mov_b32 v21, v90 :: v_dual_mov_b32 v26, v23
	;; [unrolled: 1-line block ×3, first 2 shown]
	v_mov_b32_e32 v90, v19
	v_dual_mov_b32 v20, v18 :: v_dual_mov_b32 v19, v17
	v_dual_mov_b32 v18, v16 :: v_dual_mov_b32 v17, v15
	v_mov_b32_e32 v16, v14
	v_dual_mov_b32 v14, v88 :: v_dual_mov_b32 v233, v9
	v_mov_b32_e32 v15, v89
	v_mov_b32_e32 v89, v13
	v_mov_b32_e32 v13, v11
	v_dual_mov_b32 v11, v8 :: v_dual_mov_b32 v8, v86
	v_mov_b32_e32 v88, v12
	v_mov_b32_e32 v12, v10
	;; [unrolled: 1-line block ×3, first 2 shown]
	v_dual_mov_b32 v9, v87 :: v_dual_mov_b32 v86, v6
	v_dual_mov_b32 v7, v5 :: v_dual_mov_b32 v6, v4
	;; [unrolled: 1-line block ×7, first 2 shown]
	v_mov_b32_e32 v78, v77
	v_dual_mov_b32 v77, v76 :: v_dual_mov_b32 v76, v231
	v_dual_mov_b32 v79, v232 :: v_dual_mov_b32 v232, v75
	;; [unrolled: 1-line block ×6, first 2 shown]
	v_mov_b32_e32 v67, v66
	v_mov_b32_e32 v66, v230
	;; [unrolled: 1-line block ×3, first 2 shown]
	v_dual_mov_b32 v229, v65 :: v_dual_mov_b32 v228, v64
	v_dual_mov_b32 v65, v63 :: v_dual_mov_b32 v64, v62
	;; [unrolled: 1-line block ×3, first 2 shown]
	v_mov_b32_e32 v60, v226
	v_mov_b32_e32 v226, v224
	;; [unrolled: 1-line block ×4, first 2 shown]
	v_dual_mov_b32 v220, v218 :: v_dual_mov_b32 v61, v227
	v_mov_b32_e32 v227, v225
	v_mov_b32_e32 v225, v223
	;; [unrolled: 1-line block ×4, first 2 shown]
	v_dual_mov_b32 v219, v59 :: v_dual_mov_b32 v218, v58
	v_mov_b32_e32 v58, v216
	v_mov_b32_e32 v216, v214
	;; [unrolled: 1-line block ×22, first 2 shown]
	scratch_load_b64 v[252:253], off, off offset:448 ; 8-byte Folded Reload
	v_dual_mov_b32 v56, v195 :: v_dual_mov_b32 v195, v194
	v_dual_mov_b32 v194, v193 :: v_dual_mov_b32 v55, v251
	;; [unrolled: 1-line block ×8, first 2 shown]
	v_mov_b32_e32 v181, v180
	v_dual_mov_b32 v180, v0 :: v_dual_mov_b32 v251, v249
	v_mov_b32_e32 v249, v247
	v_mov_b32_e32 v247, v245
	;; [unrolled: 1-line block ×3, first 2 shown]
	v_dual_mov_b32 v0, v179 :: v_dual_mov_b32 v243, v241
	s_delay_alu instid0(VALU_DEP_1)
	v_mov_b32_e32 v179, v0
	v_mov_b32_e32 v0, v180
	v_dual_mov_b32 v180, v181 :: v_dual_mov_b32 v181, v182
	v_dual_mov_b32 v182, v183 :: v_dual_mov_b32 v183, v184
	;; [unrolled: 1-line block ×8, first 2 shown]
	.loc	1 91 27                         ; layer_norm_bwd.py:91:27
	s_waitcnt vmcnt(0) lgkmcnt(0)
	v_add_co_u32 v240, s0, s10, v252
	s_delay_alu instid0(VALU_DEP_1)
	v_add_co_ci_u32_e64 v241, null, s11, v253, s0
	v_dual_mov_b32 v252, v199 :: v_dual_mov_b32 v199, v201
	v_mov_b32_e32 v201, v203
	v_mov_b32_e32 v203, v205
	;; [unrolled: 1-line block ×9, first 2 shown]
	v_dual_mov_b32 v253, v198 :: v_dual_mov_b32 v198, v200
	v_mov_b32_e32 v200, v202
	v_mov_b32_e32 v202, v204
	;; [unrolled: 1-line block ×9, first 2 shown]
	v_dual_mov_b32 v58, v218 :: v_dual_mov_b32 v59, v219
	v_mov_b32_e32 v219, v221
	v_mov_b32_e32 v221, v223
	;; [unrolled: 1-line block ×4, first 2 shown]
	v_dual_mov_b32 v227, v61 :: v_dual_mov_b32 v218, v220
	v_mov_b32_e32 v220, v222
	v_mov_b32_e32 v222, v224
	;; [unrolled: 1-line block ×4, first 2 shown]
	v_dual_mov_b32 v60, v62 :: v_dual_mov_b32 v61, v63
	v_dual_mov_b32 v62, v64 :: v_dual_mov_b32 v63, v65
	;; [unrolled: 1-line block ×3, first 2 shown]
	v_mov_b32_e32 v229, v230
	v_mov_b32_e32 v230, v66
	;; [unrolled: 1-line block ×3, first 2 shown]
	v_dual_mov_b32 v67, v68 :: v_dual_mov_b32 v68, v69
	v_dual_mov_b32 v69, v70 :: v_dual_mov_b32 v70, v71
	;; [unrolled: 1-line block ×4, first 2 shown]
	v_mov_b32_e32 v75, v232
	v_dual_mov_b32 v231, v76 :: v_dual_mov_b32 v76, v77
	v_dual_mov_b32 v232, v79 :: v_dual_mov_b32 v77, v78
	;; [unrolled: 1-line block ×6, first 2 shown]
	v_mov_b32_e32 v2, v4
	v_mov_b32_e32 v4, v6
	v_dual_mov_b32 v6, v86 :: v_dual_mov_b32 v87, v9
	v_mov_b32_e32 v3, v5
	v_dual_mov_b32 v5, v7 :: v_dual_mov_b32 v86, v8
	v_dual_mov_b32 v8, v11 :: v_dual_mov_b32 v7, v10
	;; [unrolled: 1-line block ×5, first 2 shown]
	v_mov_b32_e32 v15, v17
	v_mov_b32_e32 v17, v19
	;; [unrolled: 1-line block ×3, first 2 shown]
	v_dual_mov_b32 v91, v22 :: v_dual_mov_b32 v14, v16
	v_mov_b32_e32 v16, v18
	v_dual_mov_b32 v90, v21 :: v_dual_mov_b32 v21, v24
	v_mov_b32_e32 v22, v25
	;; [unrolled: 2-line block ×3, first 2 shown]
	v_mov_b32_e32 v18, v20
	v_dual_mov_b32 v20, v23 :: v_dual_mov_b32 v23, v26
	v_mov_b32_e32 v26, v95
	v_dual_mov_b32 v92, v27 :: v_dual_mov_b32 v27, v29
	v_mov_b32_e32 v29, v31
	v_mov_b32_e32 v31, v94
	;; [unrolled: 1-line block ×6, first 2 shown]
	v_dual_mov_b32 v32, v35 :: v_dual_mov_b32 v35, v38
	v_dual_mov_b32 v34, v37 :: v_dual_mov_b32 v37, v96
	v_mov_b32_e32 v38, v97
	v_mov_b32_e32 v97, v41
	v_dual_mov_b32 v33, v36 :: v_dual_mov_b32 v36, v39
	v_mov_b32_e32 v96, v40
	v_dual_mov_b32 v40, v43 :: v_dual_mov_b32 v39, v42
	v_dual_mov_b32 v42, v98 :: v_dual_mov_b32 v9, v233
	v_mov_b32_e32 v43, v99
	v_mov_b32_e32 v99, v47
	v_dual_mov_b32 v41, v44 :: v_dual_mov_b32 v44, v45
	v_mov_b32_e32 v233, v234
	v_dual_mov_b32 v45, v236 :: v_dual_mov_b32 v236, v123
	;; [unrolled: 2-line block ×3, first 2 shown]
	v_dual_mov_b32 v100, v102 :: v_dual_mov_b32 v101, v103
	v_mov_b32_e32 v102, v104
	v_dual_mov_b32 v46, v235 :: v_dual_mov_b32 v103, v105
	v_dual_mov_b32 v104, v106 :: v_dual_mov_b32 v235, v48
	;; [unrolled: 1-line block ×9, first 2 shown]
	v_mov_b32_e32 v119, v49
	v_dual_mov_b32 v49, v120 :: v_dual_mov_b32 v120, v121
	v_mov_b32_e32 v121, v122
	v_dual_mov_b32 v122, v238 :: v_dual_mov_b32 v123, v239
	v_dual_mov_b32 v239, v124 :: v_dual_mov_b32 v124, v125
	;; [unrolled: 1-line block ×3, first 2 shown]
	.loc	1 91 22                         ; layer_norm_bwd.py:91:22
	global_load_b32 v51, v[240:241], off
	v_mov_b32_e32 v126, v127
	v_dual_mov_b32 v127, v128 :: v_dual_mov_b32 v128, v129
	v_dual_mov_b32 v129, v130 :: v_dual_mov_b32 v130, v131
	;; [unrolled: 1-line block ×9, first 2 shown]
	v_mov_b32_e32 v241, v243
	v_mov_b32_e32 v237, v57
	v_dual_mov_b32 v145, v146 :: v_dual_mov_b32 v146, v147
	v_mov_b32_e32 v243, v245
	v_dual_mov_b32 v147, v50 :: v_dual_mov_b32 v50, 0
	v_dual_mov_b32 v245, v247 :: v_dual_mov_b32 v118, v53
	;; [unrolled: 1-line block ×3, first 2 shown]
	v_mov_b32_e32 v249, v251
	v_dual_mov_b32 v251, v55 :: v_dual_mov_b32 v240, v242
	v_mov_b32_e32 v242, v244
	v_mov_b32_e32 v244, v246
	;; [unrolled: 1-line block ×5, first 2 shown]
.LBB0_135:                              ;   in Loop: Header=BB0_3 Depth=1
	.loc	1 0 22                          ; layer_norm_bwd.py:0:22
	s_or_b32 exec_lo, exec_lo, s13
	.loc	1 91 22                         ; layer_norm_bwd.py:91:22
	s_and_saveexec_b32 s13, s15
	s_cbranch_execz .LBB0_137
; %bb.136:                              ;   in Loop: Header=BB0_3 Depth=1
	.loc	1 0 22                          ; layer_norm_bwd.py:0:22
	scratch_load_b64 v[54:55], off, off offset:456 ; 8-byte Folded Reload
	.loc	1 91 27                         ; layer_norm_bwd.py:91:27
	s_waitcnt vmcnt(0) lgkmcnt(0)
	v_add_co_u32 v54, s0, s10, v54
	s_delay_alu instid0(VALU_DEP_1)
	v_add_co_ci_u32_e64 v55, null, s11, v55, s0
	.loc	1 91 22                         ; layer_norm_bwd.py:91:22
	global_load_b32 v50, v[54:55], off
.LBB0_137:                              ;   in Loop: Header=BB0_3 Depth=1
	.loc	1 0 22                          ; layer_norm_bwd.py:0:22
	s_or_b32 exec_lo, exec_lo, s13
	v_dual_mov_b32 v54, 0 :: v_dual_mov_b32 v55, 0
	.loc	1 91 22                         ; layer_norm_bwd.py:91:22
	s_and_saveexec_b32 s13, s16
	s_cbranch_execz .LBB0_139
; %bb.138:                              ;   in Loop: Header=BB0_3 Depth=1
	.loc	1 91 27                         ; layer_norm_bwd.py:91:27
	s_waitcnt lgkmcnt(0)
	v_add_co_u32 v55, s0, s10, v196
	s_delay_alu instid0(VALU_DEP_1)
	v_add_co_ci_u32_e64 v56, null, s11, v197, s0
	.loc	1 91 22                         ; layer_norm_bwd.py:91:22
	global_load_b32 v55, v[55:56], off
.LBB0_139:                              ;   in Loop: Header=BB0_3 Depth=1
	.loc	1 0 22                          ; layer_norm_bwd.py:0:22
	s_or_b32 exec_lo, exec_lo, s13
	.loc	1 91 22                         ; layer_norm_bwd.py:91:22
	s_and_saveexec_b32 s13, s17
	s_cbranch_execz .LBB0_141
; %bb.140:                              ;   in Loop: Header=BB0_3 Depth=1
	.loc	1 91 27                         ; layer_norm_bwd.py:91:27
	s_waitcnt lgkmcnt(0)
	v_add_co_u32 v56, s0, s10, v58
	s_delay_alu instid0(VALU_DEP_1)
	v_add_co_ci_u32_e64 v57, null, s11, v59, s0
	.loc	1 91 22                         ; layer_norm_bwd.py:91:22
	global_load_b32 v54, v[56:57], off
.LBB0_141:                              ;   in Loop: Header=BB0_3 Depth=1
	.loc	1 0 22                          ; layer_norm_bwd.py:0:22
	s_or_b32 exec_lo, exec_lo, s13
	v_dual_mov_b32 v56, 0 :: v_dual_mov_b32 v57, 0
	.loc	1 91 22                         ; layer_norm_bwd.py:91:22
	s_and_saveexec_b32 s13, s18
	s_cbranch_execz .LBB0_143
; %bb.142:                              ;   in Loop: Header=BB0_3 Depth=1
	.loc	1 91 27                         ; layer_norm_bwd.py:91:27
	s_waitcnt lgkmcnt(0)
	v_add_co_u32 v57, s0, s10, v60
	s_delay_alu instid0(VALU_DEP_1)
	v_add_co_ci_u32_e64 v58, null, s11, v61, s0
	.loc	1 91 22                         ; layer_norm_bwd.py:91:22
	global_load_b32 v57, v[57:58], off
.LBB0_143:                              ;   in Loop: Header=BB0_3 Depth=1
	.loc	1 0 22                          ; layer_norm_bwd.py:0:22
	s_or_b32 exec_lo, exec_lo, s13
	.loc	1 91 22                         ; layer_norm_bwd.py:91:22
	s_and_saveexec_b32 s13, s19
	s_cbranch_execz .LBB0_145
; %bb.144:                              ;   in Loop: Header=BB0_3 Depth=1
	.loc	1 91 27                         ; layer_norm_bwd.py:91:27
	s_waitcnt lgkmcnt(0)
	v_add_co_u32 v58, s0, s10, v62
	s_delay_alu instid0(VALU_DEP_1)
	v_add_co_ci_u32_e64 v59, null, s11, v63, s0
	.loc	1 91 22                         ; layer_norm_bwd.py:91:22
	global_load_b32 v56, v[58:59], off
.LBB0_145:                              ;   in Loop: Header=BB0_3 Depth=1
	;; [unrolled: 29-line block ×15, first 2 shown]
	.loc	1 0 22                          ; layer_norm_bwd.py:0:22
	s_or_b32 exec_lo, exec_lo, s13
	v_dual_mov_b32 v84, 0 :: v_dual_mov_b32 v85, 0
	.loc	1 91 22                         ; layer_norm_bwd.py:91:22
	s_and_saveexec_b32 s13, s47
	s_cbranch_execz .LBB0_199
; %bb.198:                              ;   in Loop: Header=BB0_3 Depth=1
	.loc	1 91 27                         ; layer_norm_bwd.py:91:27
	s_waitcnt lgkmcnt(0)
	v_add_co_u32 v85, s0, s10, v116
	s_delay_alu instid0(VALU_DEP_1)
	v_add_co_ci_u32_e64 v86, null, s11, v117, s0
	.loc	1 91 22                         ; layer_norm_bwd.py:91:22
	global_load_b32 v85, v[85:86], off
.LBB0_199:                              ;   in Loop: Header=BB0_3 Depth=1
	.loc	1 0 22                          ; layer_norm_bwd.py:0:22
	s_or_b32 exec_lo, exec_lo, s13
	.loc	1 91 22                         ; layer_norm_bwd.py:91:22
	s_and_saveexec_b32 s13, s48
	s_cbranch_execz .LBB0_201
; %bb.200:                              ;   in Loop: Header=BB0_3 Depth=1
	.loc	1 0 22                          ; layer_norm_bwd.py:0:22
	scratch_load_b64 v[52:53], off, off offset:480 ; 8-byte Folded Reload
	.loc	1 91 27                         ; layer_norm_bwd.py:91:27
	s_waitcnt vmcnt(0) lgkmcnt(0)
	v_add_co_u32 v86, s0, s10, v52
	s_delay_alu instid0(VALU_DEP_1)
	v_add_co_ci_u32_e64 v87, null, s11, v53, s0
	.loc	1 91 22                         ; layer_norm_bwd.py:91:22
	global_load_b32 v84, v[86:87], off
.LBB0_201:                              ;   in Loop: Header=BB0_3 Depth=1
	.loc	1 0 22                          ; layer_norm_bwd.py:0:22
	s_or_b32 exec_lo, exec_lo, s13
	v_dual_mov_b32 v86, 0 :: v_dual_mov_b32 v87, 0
	.loc	1 91 22                         ; layer_norm_bwd.py:91:22
	s_and_saveexec_b32 s13, s49
	s_cbranch_execz .LBB0_203
; %bb.202:                              ;   in Loop: Header=BB0_3 Depth=1
	.loc	1 91 27                         ; layer_norm_bwd.py:91:27
	s_waitcnt lgkmcnt(0)
	v_add_co_u32 v87, s0, s10, v120
	s_delay_alu instid0(VALU_DEP_1)
	v_add_co_ci_u32_e64 v88, null, s11, v121, s0
	.loc	1 91 22                         ; layer_norm_bwd.py:91:22
	global_load_b32 v87, v[87:88], off
.LBB0_203:                              ;   in Loop: Header=BB0_3 Depth=1
	.loc	1 0 22                          ; layer_norm_bwd.py:0:22
	s_or_b32 exec_lo, exec_lo, s13
	.loc	1 91 22                         ; layer_norm_bwd.py:91:22
	s_and_saveexec_b32 s13, s50
	s_cbranch_execz .LBB0_205
; %bb.204:                              ;   in Loop: Header=BB0_3 Depth=1
	.loc	1 91 27                         ; layer_norm_bwd.py:91:27
	s_waitcnt lgkmcnt(0)
	v_add_co_u32 v88, s0, s10, v122
	s_delay_alu instid0(VALU_DEP_1)
	v_add_co_ci_u32_e64 v89, null, s11, v123, s0
	.loc	1 91 22                         ; layer_norm_bwd.py:91:22
	global_load_b32 v86, v[88:89], off
.LBB0_205:                              ;   in Loop: Header=BB0_3 Depth=1
	.loc	1 0 22                          ; layer_norm_bwd.py:0:22
	s_or_b32 exec_lo, exec_lo, s13
	v_dual_mov_b32 v88, 0 :: v_dual_mov_b32 v89, 0
	.loc	1 91 22                         ; layer_norm_bwd.py:91:22
	s_and_saveexec_b32 s13, s51
	s_cbranch_execz .LBB0_207
; %bb.206:                              ;   in Loop: Header=BB0_3 Depth=1
	.loc	1 91 27                         ; layer_norm_bwd.py:91:27
	s_waitcnt lgkmcnt(0)
	v_add_co_u32 v89, s0, s10, v124
	s_delay_alu instid0(VALU_DEP_1)
	v_add_co_ci_u32_e64 v90, null, s11, v125, s0
	.loc	1 91 22                         ; layer_norm_bwd.py:91:22
	global_load_b32 v89, v[89:90], off
.LBB0_207:                              ;   in Loop: Header=BB0_3 Depth=1
	.loc	1 0 22                          ; layer_norm_bwd.py:0:22
	s_or_b32 exec_lo, exec_lo, s13
	.loc	1 91 22                         ; layer_norm_bwd.py:91:22
	s_and_saveexec_b32 s13, s52
	s_cbranch_execz .LBB0_209
; %bb.208:                              ;   in Loop: Header=BB0_3 Depth=1
	.loc	1 91 27                         ; layer_norm_bwd.py:91:27
	s_waitcnt lgkmcnt(0)
	v_add_co_u32 v90, s0, s10, v126
	s_delay_alu instid0(VALU_DEP_1)
	v_add_co_ci_u32_e64 v91, null, s11, v127, s0
	.loc	1 91 22                         ; layer_norm_bwd.py:91:22
	global_load_b32 v88, v[90:91], off
.LBB0_209:                              ;   in Loop: Header=BB0_3 Depth=1
	;; [unrolled: 29-line block ×6, first 2 shown]
	.loc	1 0 22                          ; layer_norm_bwd.py:0:22
	s_or_b32 exec_lo, exec_lo, s13
	v_dual_mov_b32 v98, 0 :: v_dual_mov_b32 v99, 0
	.loc	1 91 22                         ; layer_norm_bwd.py:91:22
	s_and_saveexec_b32 s13, s61
	s_cbranch_execz .LBB0_227
; %bb.226:                              ;   in Loop: Header=BB0_3 Depth=1
	.loc	1 91 27                         ; layer_norm_bwd.py:91:27
	s_waitcnt lgkmcnt(0)
	v_add_co_u32 v99, s0, s10, v144
	s_delay_alu instid0(VALU_DEP_1)
	v_add_co_ci_u32_e64 v100, null, s11, v145, s0
	.loc	1 91 22                         ; layer_norm_bwd.py:91:22
	global_load_b32 v99, v[99:100], off
.LBB0_227:                              ;   in Loop: Header=BB0_3 Depth=1
	.loc	1 0 22                          ; layer_norm_bwd.py:0:22
	s_or_b32 exec_lo, exec_lo, s13
	.loc	1 91 22                         ; layer_norm_bwd.py:91:22
	s_and_saveexec_b32 s13, s62
	s_cbranch_execz .LBB0_229
; %bb.228:                              ;   in Loop: Header=BB0_3 Depth=1
	.loc	1 0 22                          ; layer_norm_bwd.py:0:22
	scratch_load_b64 v[52:53], off, off offset:496 ; 8-byte Folded Reload
	.loc	1 91 27                         ; layer_norm_bwd.py:91:27
	s_waitcnt vmcnt(0) lgkmcnt(0)
	v_add_co_u32 v100, s0, s10, v52
	s_delay_alu instid0(VALU_DEP_1)
	v_add_co_ci_u32_e64 v101, null, s11, v53, s0
	.loc	1 91 22                         ; layer_norm_bwd.py:91:22
	global_load_b32 v98, v[100:101], off
.LBB0_229:                              ;   in Loop: Header=BB0_3 Depth=1
	.loc	1 0 22                          ; layer_norm_bwd.py:0:22
	s_or_b32 exec_lo, exec_lo, s13
	v_dual_mov_b32 v100, 0 :: v_dual_mov_b32 v101, 0
	.loc	1 91 22                         ; layer_norm_bwd.py:91:22
	s_and_saveexec_b32 s13, s63
	s_cbranch_execz .LBB0_231
; %bb.230:                              ;   in Loop: Header=BB0_3 Depth=1
	.loc	1 91 27                         ; layer_norm_bwd.py:91:27
	s_waitcnt lgkmcnt(0)
	v_add_co_u32 v101, s0, s10, v148
	s_delay_alu instid0(VALU_DEP_1)
	v_add_co_ci_u32_e64 v102, null, s11, v149, s0
	.loc	1 91 22                         ; layer_norm_bwd.py:91:22
	global_load_b32 v101, v[101:102], off
.LBB0_231:                              ;   in Loop: Header=BB0_3 Depth=1
	.loc	1 0 22                          ; layer_norm_bwd.py:0:22
	s_or_b32 exec_lo, exec_lo, s13
	.loc	1 91 22                         ; layer_norm_bwd.py:91:22
	s_and_saveexec_b32 s13, s64
	s_cbranch_execz .LBB0_233
; %bb.232:                              ;   in Loop: Header=BB0_3 Depth=1
	.loc	1 91 27                         ; layer_norm_bwd.py:91:27
	s_waitcnt lgkmcnt(0)
	v_add_co_u32 v102, s0, s10, v150
	s_delay_alu instid0(VALU_DEP_1)
	v_add_co_ci_u32_e64 v103, null, s11, v151, s0
	.loc	1 91 22                         ; layer_norm_bwd.py:91:22
	global_load_b32 v100, v[102:103], off
.LBB0_233:                              ;   in Loop: Header=BB0_3 Depth=1
	.loc	1 0 22                          ; layer_norm_bwd.py:0:22
	s_or_b32 exec_lo, exec_lo, s13
	v_dual_mov_b32 v102, 0 :: v_dual_mov_b32 v103, 0
	.loc	1 91 22                         ; layer_norm_bwd.py:91:22
	s_and_saveexec_b32 s13, s65
	s_cbranch_execz .LBB0_235
; %bb.234:                              ;   in Loop: Header=BB0_3 Depth=1
	.loc	1 91 27                         ; layer_norm_bwd.py:91:27
	s_waitcnt lgkmcnt(0)
	v_add_co_u32 v103, s0, s10, v152
	s_delay_alu instid0(VALU_DEP_1)
	v_add_co_ci_u32_e64 v104, null, s11, v153, s0
	.loc	1 91 22                         ; layer_norm_bwd.py:91:22
	global_load_b32 v103, v[103:104], off
.LBB0_235:                              ;   in Loop: Header=BB0_3 Depth=1
	.loc	1 0 22                          ; layer_norm_bwd.py:0:22
	s_or_b32 exec_lo, exec_lo, s13
	.loc	1 91 22                         ; layer_norm_bwd.py:91:22
	s_and_saveexec_b32 s13, s66
	s_cbranch_execz .LBB0_237
; %bb.236:                              ;   in Loop: Header=BB0_3 Depth=1
	.loc	1 91 27                         ; layer_norm_bwd.py:91:27
	s_waitcnt lgkmcnt(0)
	v_add_co_u32 v104, s0, s10, v154
	s_delay_alu instid0(VALU_DEP_1)
	v_add_co_ci_u32_e64 v105, null, s11, v155, s0
	.loc	1 91 22                         ; layer_norm_bwd.py:91:22
	global_load_b32 v102, v[104:105], off
.LBB0_237:                              ;   in Loop: Header=BB0_3 Depth=1
	;; [unrolled: 29-line block ×6, first 2 shown]
	.loc	1 0 22                          ; layer_norm_bwd.py:0:22
	s_or_b32 exec_lo, exec_lo, s13
	v_dual_mov_b32 v112, 0 :: v_dual_mov_b32 v113, 0
	.loc	1 91 22                         ; layer_norm_bwd.py:91:22
	s_and_saveexec_b32 s13, s75
	s_cbranch_execnz .LBB0_256
; %bb.254:                              ;   in Loop: Header=BB0_3 Depth=1
	.loc	1 0 22                          ; layer_norm_bwd.py:0:22
	s_or_b32 exec_lo, exec_lo, s13
	.loc	1 91 22                         ; layer_norm_bwd.py:91:22
	s_and_saveexec_b32 s13, s76
	s_cbranch_execnz .LBB0_257
.LBB0_255:                              ;   in Loop: Header=BB0_3 Depth=1
	.loc	1 0 22                          ; layer_norm_bwd.py:0:22
	s_or_b32 exec_lo, exec_lo, s13
	v_mov_b32_e32 v114, 0
	.loc	1 91 22                         ; layer_norm_bwd.py:91:22
	s_and_saveexec_b32 s13, s77
	s_cbranch_execz .LBB0_2
	s_branch .LBB0_258
.LBB0_256:                              ;   in Loop: Header=BB0_3 Depth=1
	.loc	1 91 27                         ; layer_norm_bwd.py:91:27
	s_waitcnt lgkmcnt(0)
	v_add_co_u32 v113, s0, s10, v172
	s_delay_alu instid0(VALU_DEP_1)
	v_add_co_ci_u32_e64 v114, null, s11, v173, s0
	.loc	1 91 22                         ; layer_norm_bwd.py:91:22
	global_load_b32 v113, v[113:114], off
	s_or_b32 exec_lo, exec_lo, s13
	s_and_saveexec_b32 s13, s76
	s_cbranch_execz .LBB0_255
.LBB0_257:                              ;   in Loop: Header=BB0_3 Depth=1
	.loc	1 91 27                         ; layer_norm_bwd.py:91:27
	s_waitcnt lgkmcnt(0)
	v_add_co_u32 v114, s0, s10, v174
	s_delay_alu instid0(VALU_DEP_1)
	v_add_co_ci_u32_e64 v115, null, s11, v175, s0
	.loc	1 91 22                         ; layer_norm_bwd.py:91:22
	global_load_b32 v112, v[114:115], off
	s_or_b32 exec_lo, exec_lo, s13
	v_mov_b32_e32 v114, 0
	s_and_saveexec_b32 s13, s77
	s_cbranch_execz .LBB0_2
.LBB0_258:                              ;   in Loop: Header=BB0_3 Depth=1
	.loc	1 91 27                         ; layer_norm_bwd.py:91:27
	s_waitcnt lgkmcnt(0)
	v_add_co_u32 v114, s0, s10, v176
	s_delay_alu instid0(VALU_DEP_1)
	v_add_co_ci_u32_e64 v115, null, s11, v177, s0
	.loc	1 91 22                         ; layer_norm_bwd.py:91:22
	global_load_b32 v114, v[114:115], off
	s_branch .LBB0_2
.LBB0_259:                              ; %._crit_edge.loopexit
.Ltmp1:
	.file	2 "/root/.local/lib/python3.13/site-packages/triton/language" "standard.py"
	.loc	2 263 15 is_stmt 1              ; standard.py:263:15 @[ standard.py:293:36 @[ layer_norm_bwd.py:94:20 ] ]
	s_clause 0x1                            ; 8-byte Folded Reload
	scratch_load_b32 v3, off, off offset:396
	scratch_load_b32 v4, off, off offset:404
	s_waitcnt vmcnt(0)
	v_add_f32_e32 v3, v3, v4
	scratch_load_b32 v4, off, off offset:400 ; 4-byte Folded Reload
.Ltmp2:
	.loc	2 293 36                        ; standard.py:293:36 @[ layer_norm_bwd.py:93:20 ]
	s_waitcnt vmcnt(0)
	v_dual_add_f32 v2, v230, v228 :: v_dual_add_f32 v3, v4, v3
.Ltmp3:
	.loc	2 263 15                        ; standard.py:263:15 @[ standard.py:293:36 @[ layer_norm_bwd.py:94:20 ] ]
	scratch_load_b32 v4, off, off offset:392 ; 4-byte Folded Reload
.Ltmp4:
	.loc	2 293 36                        ; standard.py:293:36 @[ layer_norm_bwd.py:93:20 ]
	s_waitcnt vmcnt(0)
	v_dual_add_f32 v2, v227, v2 :: v_dual_add_f32 v3, v4, v3
.Ltmp5:
	.loc	2 263 15                        ; standard.py:263:15 @[ standard.py:293:36 @[ layer_norm_bwd.py:94:20 ] ]
	scratch_load_b32 v4, off, off offset:388 ; 4-byte Folded Reload
.Ltmp6:
	.loc	2 293 36                        ; standard.py:293:36 @[ layer_norm_bwd.py:93:20 ]
	v_add_f32_e32 v2, v226, v2
	s_waitcnt vmcnt(0)
	s_delay_alu instid0(VALU_DEP_1) | instskip(SKIP_2) | instid1(VALU_DEP_1)
	v_dual_add_f32 v2, v225, v2 :: v_dual_add_f32 v3, v4, v3
.Ltmp7:
	.loc	2 263 15                        ; standard.py:263:15 @[ standard.py:293:36 @[ layer_norm_bwd.py:94:20 ] ]
	scratch_load_b32 v4, off, off offset:384 ; 4-byte Folded Reload
.Ltmp8:
	.loc	2 293 36                        ; standard.py:293:36 @[ layer_norm_bwd.py:93:20 ]
	v_add_f32_e32 v2, v224, v2
	v_add_f32_e32 v2, v223, v2
	s_delay_alu instid0(VALU_DEP_1) | instskip(NEXT) | instid1(VALU_DEP_1)
	v_add_f32_e32 v2, v222, v2
	v_add_f32_e32 v2, v221, v2
	s_delay_alu instid0(VALU_DEP_1) | instskip(NEXT) | instid1(VALU_DEP_1)
	;; [unrolled: 3-line block ×22, first 2 shown]
	v_add_f32_e32 v2, v180, v2
	v_add_f32_e32 v0, v0, v2
.Ltmp9:
	.loc	2 263 15                        ; standard.py:263:15 @[ standard.py:293:36 @[ layer_norm_bwd.py:94:20 ] ]
	scratch_load_b32 v2, off, off offset:204 ; 4-byte Folded Reload
.Ltmp10:
	.loc	2 293 36                        ; standard.py:293:36 @[ layer_norm_bwd.py:93:20 ]
	v_add_f32_e32 v0, v179, v0
	s_delay_alu instid0(VALU_DEP_1) | instskip(SKIP_1) | instid1(VALU_DEP_1)
	v_add_f32_e32 v0, v255, v0
	s_waitcnt vmcnt(1)
	v_dual_add_f32 v0, v254, v0 :: v_dual_add_f32 v3, v4, v3
.Ltmp11:
	.loc	2 263 15                        ; standard.py:263:15 @[ standard.py:293:36 @[ layer_norm_bwd.py:94:20 ] ]
	scratch_load_b32 v4, off, off offset:380 ; 4-byte Folded Reload
	s_waitcnt vmcnt(0)
	v_add_f32_e32 v3, v4, v3
	scratch_load_b32 v4, off, off offset:376 ; 4-byte Folded Reload
	s_waitcnt vmcnt(0)
	v_add_f32_e32 v3, v4, v3
	;; [unrolled: 3-line block ×44, first 2 shown]
	s_delay_alu instid0(VALU_DEP_1)
	v_add_f32_e32 v2, v2, v3
	scratch_load_b32 v3, off, off offset:200 ; 4-byte Folded Reload
	s_waitcnt vmcnt(0)
	v_add_f32_e32 v2, v3, v2
.Ltmp12:
	.loc	2 293 36                        ; standard.py:293:36 @[ layer_norm_bwd.py:93:20 ]
	scratch_load_b32 v3, off, off offset:440 ; 4-byte Folded Reload
.Ltmp13:
	.loc	2 263 15                        ; standard.py:263:15 @[ standard.py:293:36 @[ layer_norm_bwd.py:94:20 ] ]
	v_add_f32_e32 v2, v251, v2
	s_delay_alu instid0(VALU_DEP_1) | instskip(NEXT) | instid1(VALU_DEP_1)
	v_add_f32_e32 v2, v250, v2
	v_add_f32_e32 v2, v249, v2
	s_delay_alu instid0(VALU_DEP_1) | instskip(NEXT) | instid1(VALU_DEP_1)
	v_add_f32_e32 v2, v248, v2
	;; [unrolled: 3-line block ×5, first 2 shown]
	v_add_f32_e32 v2, v241, v2
	s_delay_alu instid0(VALU_DEP_1)
	v_add_f32_e32 v2, v240, v2
.Ltmp14:
	.loc	2 293 36                        ; standard.py:293:36 @[ layer_norm_bwd.py:93:20 ]
	s_waitcnt vmcnt(0)
	v_add_f32_e32 v0, v3, v0
	scratch_load_b32 v3, off, off offset:444 ; 4-byte Folded Reload
	s_waitcnt vmcnt(0)
	v_add_f32_e32 v0, v3, v0
	scratch_load_b32 v3, off, off offset:436 ; 4-byte Folded Reload
	;; [unrolled: 3-line block ×10, first 2 shown]
	s_branch .LBB0_261
.LBB0_260:
	.loc	2 0 36 is_stmt 0                ; standard.py:0:36
	v_dual_mov_b32 v3, 0 :: v_dual_mov_b32 v2, 0
.LBB0_261:                              ; %._crit_edge
	.loc	2 293 36 is_stmt 1              ; standard.py:293:36 @[ layer_norm_bwd.py:93:20 ]
	s_waitcnt vmcnt(0)
	v_lshrrev_b32_e32 v4, 5, v0
	v_lshl_add_u32 v8, v178, 3, 0
	v_and_b32_e32 v7, 1, v0
	s_delay_alu instid0(VALU_DEP_3) | instskip(NEXT) | instid1(VALU_DEP_2)
	v_and_b32_e32 v4, 4, v4
	v_cmp_eq_u32_e64 s0, 0, v7
	s_delay_alu instid0(VALU_DEP_2)
	v_add_nc_u32_e32 v5, v8, v4
	v_lshl_add_u32 v4, v0, 2, 0
	ds_store_b32 v5, v3
	s_waitcnt lgkmcnt(0)
	s_waitcnt_vscnt null, 0x0
	s_barrier
	buffer_gl0_inv
	ds_load_b32 v3, v4
	s_waitcnt lgkmcnt(0)
	v_mov_b32_e32 v6, v3
	s_delay_alu instid0(VALU_DEP_1)
	v_mov_b32_dpp v6, v6 quad_perm:[1,0,3,2] row_mask:0xf bank_mask:0xf
	s_and_saveexec_b32 s1, s0
; %bb.262:
	.loc	2 0 36 is_stmt 0                ; standard.py:0:36
	s_delay_alu instid0(VALU_DEP_1)
	v_add_f32_e32 v3, v3, v6
	.loc	2 293 36                        ; standard.py:293:36 @[ layer_norm_bwd.py:93:20 ]
	ds_store_b32 v4, v3
; %bb.263:
	.loc	2 0 36                          ; standard.py:0:36
	s_or_b32 exec_lo, exec_lo, s1
	.loc	2 293 36                        ; standard.py:293:36 @[ layer_norm_bwd.py:93:20 ]
	s_waitcnt lgkmcnt(0)
	s_barrier
	buffer_gl0_inv
	ds_load_b32 v3, v8
.Ltmp15:
	.loc	2 293 36                        ; standard.py:293:36 @[ layer_norm_bwd.py:94:20 ]
	s_waitcnt lgkmcnt(0)
	s_barrier
	buffer_gl0_inv
	ds_store_b32 v5, v2
	s_waitcnt lgkmcnt(0)
	s_barrier
	buffer_gl0_inv
	ds_load_b32 v2, v4
	s_waitcnt lgkmcnt(0)
	v_mov_b32_e32 v5, v2
	s_delay_alu instid0(VALU_DEP_1)
	v_mov_b32_dpp v5, v5 quad_perm:[1,0,3,2] row_mask:0xf bank_mask:0xf
	s_and_saveexec_b32 s1, s0
; %bb.264:
	.loc	2 0 36                          ; standard.py:0:36
	s_delay_alu instid0(VALU_DEP_1)
	v_add_f32_e32 v2, v2, v5
	.loc	2 293 36                        ; standard.py:293:36 @[ layer_norm_bwd.py:94:20 ]
	ds_store_b32 v4, v2
.Ltmp16:
; %bb.265:
	.loc	2 0 36                          ; standard.py:0:36
	s_or_b32 exec_lo, exec_lo, s1
	.loc	1 95 30 is_stmt 1               ; layer_norm_bwd.py:95:30
	v_and_b32_e32 v2, 0x80, v0
.Ltmp17:
	.loc	2 293 36                        ; standard.py:293:36 @[ layer_norm_bwd.py:94:20 ]
	s_waitcnt lgkmcnt(0)
	s_barrier
	buffer_gl0_inv
.Ltmp18:
	.loc	1 95 30                         ; layer_norm_bwd.py:95:30
	v_cmp_eq_u32_e64 s0, 0, v2
	s_and_b32 s0, s0, vcc_lo
	s_delay_alu instid0(SALU_CYCLE_1)
	s_and_saveexec_b32 s1, s0
	s_cbranch_execz .LBB0_267
; %bb.266:
	.loc	1 0 30 is_stmt 0                ; layer_norm_bwd.py:0:30
	v_ashrrev_i32_e32 v2, 31, v1
	.loc	1 96 30 is_stmt 1               ; layer_norm_bwd.py:96:30
	ds_load_b32 v6, v8
	v_lshlrev_b64 v[0:1], 2, v[1:2]
	s_delay_alu instid0(VALU_DEP_1) | instskip(NEXT) | instid1(VALU_DEP_1)
	v_add_co_u32 v4, vcc_lo, s4, v0
	v_add_co_ci_u32_e64 v5, null, s5, v1, vcc_lo
	v_add_co_u32 v0, vcc_lo, s6, v0
	s_delay_alu instid0(VALU_DEP_1)
	v_add_co_ci_u32_e64 v1, null, s7, v1, vcc_lo
	.loc	1 95 30                         ; layer_norm_bwd.py:95:30
	global_store_b32 v[4:5], v3, off
	.loc	1 96 30                         ; layer_norm_bwd.py:96:30
	s_waitcnt lgkmcnt(0)
	global_store_b32 v[0:1], v6, off
.LBB0_267:                              ; %.critedge
	.loc	1 96 4                          ; layer_norm_bwd.py:96:4
	s_nop 0
	s_sendmsg sendmsg(MSG_DEALLOC_VGPRS)
	s_endpgm
.Ltmp19:
	.section	.rodata,"a",@progbits
	.p2align	6, 0x0
	.amdhsa_kernel _layer_norm_bwd_dwdb
		.amdhsa_group_segment_fixed_size 0
		.amdhsa_private_segment_fixed_size 516
		.amdhsa_kernarg_size 56
		.amdhsa_user_sgpr_count 15
		.amdhsa_user_sgpr_dispatch_ptr 0
		.amdhsa_user_sgpr_queue_ptr 0
		.amdhsa_user_sgpr_kernarg_segment_ptr 1
		.amdhsa_user_sgpr_dispatch_id 0
		.amdhsa_user_sgpr_private_segment_size 0
		.amdhsa_wavefront_size32 1
		.amdhsa_uses_dynamic_stack 0
		.amdhsa_enable_private_segment 1
		.amdhsa_system_sgpr_workgroup_id_x 1
		.amdhsa_system_sgpr_workgroup_id_y 0
		.amdhsa_system_sgpr_workgroup_id_z 0
		.amdhsa_system_sgpr_workgroup_info 0
		.amdhsa_system_vgpr_workitem_id 0
		.amdhsa_next_free_vgpr 256
		.amdhsa_next_free_sgpr 79
		.amdhsa_reserve_vcc 1
		.amdhsa_float_round_mode_32 0
		.amdhsa_float_round_mode_16_64 0
		.amdhsa_float_denorm_mode_32 3
		.amdhsa_float_denorm_mode_16_64 3
		.amdhsa_dx10_clamp 1
		.amdhsa_ieee_mode 1
		.amdhsa_fp16_overflow 0
		.amdhsa_workgroup_processor_mode 1
		.amdhsa_memory_ordered 1
		.amdhsa_forward_progress 1
		.amdhsa_shared_vgpr_count 0
		.amdhsa_inst_pref_size 63
		.amdhsa_exception_fp_ieee_invalid_op 0
		.amdhsa_exception_fp_denorm_src 0
		.amdhsa_exception_fp_ieee_div_zero 0
		.amdhsa_exception_fp_ieee_overflow 0
		.amdhsa_exception_fp_ieee_underflow 0
		.amdhsa_exception_fp_ieee_inexact 0
		.amdhsa_exception_int_div_zero 0
	.end_amdhsa_kernel
	.text
.Lfunc_end0:
	.size	_layer_norm_bwd_dwdb, .Lfunc_end0-_layer_norm_bwd_dwdb
	.cfi_endproc
                                        ; -- End function
	.set _layer_norm_bwd_dwdb.num_vgpr, 256
	.set _layer_norm_bwd_dwdb.num_agpr, 0
	.set _layer_norm_bwd_dwdb.numbered_sgpr, 79
	.set _layer_norm_bwd_dwdb.num_named_barrier, 0
	.set _layer_norm_bwd_dwdb.private_seg_size, 516
	.set _layer_norm_bwd_dwdb.uses_vcc, 1
	.set _layer_norm_bwd_dwdb.uses_flat_scratch, 1
	.set _layer_norm_bwd_dwdb.has_dyn_sized_stack, 0
	.set _layer_norm_bwd_dwdb.has_recursion, 0
	.set _layer_norm_bwd_dwdb.has_indirect_call, 0
	.section	.AMDGPU.csdata,"",@progbits
; Kernel info:
; codeLenInByte = 18060
; TotalNumSgprs: 81
; NumVgprs: 256
; ScratchSize: 516
; MemoryBound: 0
; FloatMode: 240
; IeeeMode: 1
; LDSByteSize: 0 bytes/workgroup (compile time only)
; SGPRBlocks: 0
; VGPRBlocks: 31
; NumSGPRsForWavesPerEU: 81
; NumVGPRsForWavesPerEU: 256
; Occupancy: 5
; WaveLimiterHint : 0
; COMPUTE_PGM_RSRC2:SCRATCH_EN: 1
; COMPUTE_PGM_RSRC2:USER_SGPR: 15
; COMPUTE_PGM_RSRC2:TRAP_HANDLER: 0
; COMPUTE_PGM_RSRC2:TGID_X_EN: 1
; COMPUTE_PGM_RSRC2:TGID_Y_EN: 0
; COMPUTE_PGM_RSRC2:TGID_Z_EN: 0
; COMPUTE_PGM_RSRC2:TIDIG_COMP_CNT: 0
	.text
	.p2alignl 7, 3214868480
	.fill 96, 4, 3214868480
	.section	.AMDGPU.gpr_maximums,"",@progbits
	.set amdgpu.max_num_vgpr, 0
	.set amdgpu.max_num_agpr, 0
	.set amdgpu.max_num_sgpr, 0
	.set amdgpu.max_num_named_barrier, 0
	.text
	.section	.debug_abbrev,"",@progbits
	.byte	1                               ; Abbreviation Code
	.byte	17                              ; DW_TAG_compile_unit
	.byte	1                               ; DW_CHILDREN_yes
	.byte	37                              ; DW_AT_producer
	.byte	14                              ; DW_FORM_strp
	.byte	19                              ; DW_AT_language
	.byte	5                               ; DW_FORM_data2
	.byte	3                               ; DW_AT_name
	.byte	14                              ; DW_FORM_strp
	.byte	16                              ; DW_AT_stmt_list
	.byte	23                              ; DW_FORM_sec_offset
	.byte	27                              ; DW_AT_comp_dir
	.byte	14                              ; DW_FORM_strp
	.byte	17                              ; DW_AT_low_pc
	.byte	1                               ; DW_FORM_addr
	.byte	18                              ; DW_AT_high_pc
	.byte	6                               ; DW_FORM_data4
	.byte	0                               ; EOM(1)
	.byte	0                               ; EOM(2)
	.byte	2                               ; Abbreviation Code
	.byte	46                              ; DW_TAG_subprogram
	.byte	0                               ; DW_CHILDREN_no
	.byte	3                               ; DW_AT_name
	.byte	14                              ; DW_FORM_strp
	.byte	32                              ; DW_AT_inline
	.byte	11                              ; DW_FORM_data1
	.byte	0                               ; EOM(1)
	.byte	0                               ; EOM(2)
	.byte	3                               ; Abbreviation Code
	.byte	46                              ; DW_TAG_subprogram
	.byte	1                               ; DW_CHILDREN_yes
	.byte	17                              ; DW_AT_low_pc
	.byte	1                               ; DW_FORM_addr
	.byte	18                              ; DW_AT_high_pc
	.byte	6                               ; DW_FORM_data4
	.byte	49                              ; DW_AT_abstract_origin
	.byte	19                              ; DW_FORM_ref4
	.byte	0                               ; EOM(1)
	.byte	0                               ; EOM(2)
	.byte	4                               ; Abbreviation Code
	.byte	29                              ; DW_TAG_inlined_subroutine
	.byte	1                               ; DW_CHILDREN_yes
	.byte	49                              ; DW_AT_abstract_origin
	.byte	19                              ; DW_FORM_ref4
	.byte	85                              ; DW_AT_ranges
	.byte	23                              ; DW_FORM_sec_offset
	.byte	88                              ; DW_AT_call_file
	.byte	11                              ; DW_FORM_data1
	.byte	89                              ; DW_AT_call_line
	.byte	11                              ; DW_FORM_data1
	.byte	87                              ; DW_AT_call_column
	.byte	11                              ; DW_FORM_data1
	.byte	0                               ; EOM(1)
	.byte	0                               ; EOM(2)
	.byte	5                               ; Abbreviation Code
	.byte	29                              ; DW_TAG_inlined_subroutine
	.byte	0                               ; DW_CHILDREN_no
	.byte	49                              ; DW_AT_abstract_origin
	.byte	19                              ; DW_FORM_ref4
	.byte	85                              ; DW_AT_ranges
	.byte	23                              ; DW_FORM_sec_offset
	.byte	88                              ; DW_AT_call_file
	.byte	11                              ; DW_FORM_data1
	.byte	89                              ; DW_AT_call_line
	.byte	5                               ; DW_FORM_data2
	.byte	87                              ; DW_AT_call_column
	.byte	11                              ; DW_FORM_data1
	.byte	0                               ; EOM(1)
	.byte	0                               ; EOM(2)
	.byte	6                               ; Abbreviation Code
	.byte	29                              ; DW_TAG_inlined_subroutine
	.byte	0                               ; DW_CHILDREN_no
	.byte	49                              ; DW_AT_abstract_origin
	.byte	19                              ; DW_FORM_ref4
	.byte	85                              ; DW_AT_ranges
	.byte	23                              ; DW_FORM_sec_offset
	.byte	88                              ; DW_AT_call_file
	.byte	11                              ; DW_FORM_data1
	.byte	89                              ; DW_AT_call_line
	.byte	11                              ; DW_FORM_data1
	.byte	87                              ; DW_AT_call_column
	.byte	11                              ; DW_FORM_data1
	.byte	0                               ; EOM(1)
	.byte	0                               ; EOM(2)
	;; [unrolled: 1-line block ×3, first 2 shown]
	.section	.debug_info,"",@progbits
.Lcu_begin0:
	.long	.Ldebug_info_end0-.Ldebug_info_start0 ; Length of Unit
.Ldebug_info_start0:
	.short	4                               ; DWARF version number
	.long	.debug_abbrev                   ; Offset Into Abbrev. Section
	.byte	8                               ; Address Size (in bytes)
	.byte	1                               ; Abbrev [1] 0xb:0x5e DW_TAG_compile_unit
	.long	.Linfo_string0                  ; DW_AT_producer
	.short	2                               ; DW_AT_language
	.long	.Linfo_string1                  ; DW_AT_name
	.long	.Lline_table_start0             ; DW_AT_stmt_list
	.long	.Linfo_string2                  ; DW_AT_comp_dir
	.quad	.Lfunc_begin0                   ; DW_AT_low_pc
	.long	.Lfunc_end0-.Lfunc_begin0       ; DW_AT_high_pc
	.byte	2                               ; Abbrev [2] 0x2a:0x6 DW_TAG_subprogram
	.long	.Linfo_string3                  ; DW_AT_name
	.byte	1                               ; DW_AT_inline
	.byte	3                               ; Abbrev [3] 0x30:0x38 DW_TAG_subprogram
	.quad	.Lfunc_begin0                   ; DW_AT_low_pc
	.long	.Lfunc_end0-.Lfunc_begin0       ; DW_AT_high_pc
	.long	42                              ; DW_AT_abstract_origin
	.byte	4                               ; Abbrev [4] 0x41:0x1a DW_TAG_inlined_subroutine
	.long	42                              ; DW_AT_abstract_origin
	.long	.Ldebug_ranges0                 ; DW_AT_ranges
	.byte	1                               ; DW_AT_call_file
	.byte	94                              ; DW_AT_call_line
	.byte	20                              ; DW_AT_call_column
	.byte	5                               ; Abbrev [5] 0x4d:0xd DW_TAG_inlined_subroutine
	.long	42                              ; DW_AT_abstract_origin
	.long	.Ldebug_ranges1                 ; DW_AT_ranges
	.byte	2                               ; DW_AT_call_file
	.short	293                             ; DW_AT_call_line
	.byte	36                              ; DW_AT_call_column
	.byte	0                               ; End Of Children Mark
	.byte	6                               ; Abbrev [6] 0x5b:0xc DW_TAG_inlined_subroutine
	.long	42                              ; DW_AT_abstract_origin
	.long	.Ldebug_ranges2                 ; DW_AT_ranges
	.byte	1                               ; DW_AT_call_file
	.byte	93                              ; DW_AT_call_line
	.byte	20                              ; DW_AT_call_column
	.byte	0                               ; End Of Children Mark
	.byte	0                               ; End Of Children Mark
.Ldebug_info_end0:
	.section	.debug_ranges,"",@progbits
.Ldebug_ranges0:
	.quad	.Ltmp1-.Lfunc_begin0
	.quad	.Ltmp2-.Lfunc_begin0
	;; [unrolled: 1-line block ×18, first 2 shown]
	.quad	0
	.quad	0
.Ldebug_ranges1:
	.quad	.Ltmp1-.Lfunc_begin0
	.quad	.Ltmp2-.Lfunc_begin0
	;; [unrolled: 1-line block ×14, first 2 shown]
	.quad	0
	.quad	0
.Ldebug_ranges2:
	.quad	.Ltmp2-.Lfunc_begin0
	.quad	.Ltmp3-.Lfunc_begin0
	;; [unrolled: 1-line block ×14, first 2 shown]
	.quad	0
	.quad	0
	.section	.debug_str,"MS",@progbits,1
.Linfo_string0:
	.asciz	"triton"                        ; string offset=0
.Linfo_string1:
	.asciz	"layer_norm_bwd.py"             ; string offset=7
.Linfo_string2:
	.asciz	"/root/src/amdgpu-assembly/repos/triton-lang__triton-aot" ; string offset=25
.Linfo_string3:
	.asciz	"_layer_norm_bwd_dwdb"          ; string offset=81
	.section	".note.GNU-stack","",@progbits
	.amdgpu_metadata
---
amdhsa.kernels:
  - .args:
      - .address_space:  global
        .offset:         0
        .size:           8
        .value_kind:     global_buffer
      - .address_space:  global
        .offset:         8
        .size:           8
        .value_kind:     global_buffer
      - .address_space:  global
        .offset:         16
        .size:           8
        .value_kind:     global_buffer
      - .address_space:  global
        .offset:         24
        .size:           8
        .value_kind:     global_buffer
      - .offset:         32
        .size:           4
        .value_kind:     by_value
      - .offset:         36
        .size:           4
        .value_kind:     by_value
      - .address_space:  global
        .offset:         40
        .size:           8
        .value_kind:     global_buffer
      - .address_space:  global
        .offset:         48
        .size:           8
        .value_kind:     global_buffer
    .group_segment_fixed_size: 0
    .kernarg_segment_align: 8
    .kernarg_segment_size: 56
    .max_flat_workgroup_size: 256
    .name:           _layer_norm_bwd_dwdb
    .private_segment_fixed_size: 516
    .sgpr_count:     81
    .sgpr_spill_count: 0
    .symbol:         _layer_norm_bwd_dwdb.kd
    .uniform_work_group_size: 1
    .uses_dynamic_stack: false
    .vgpr_count:     256
    .vgpr_spill_count: 240
    .wavefront_size: 32
    .workgroup_processor_mode: 1
amdhsa.target:   amdgcn-amd-amdhsa--gfx1100
amdhsa.version:
  - 1
  - 2
...

	.end_amdgpu_metadata
	.section	.debug_line,"",@progbits
.Lline_table_start0:
